;; amdgpu-corpus repo=ROCm/rocFFT kind=compiled arch=gfx950 opt=O3
	.text
	.amdgcn_target "amdgcn-amd-amdhsa--gfx950"
	.amdhsa_code_object_version 6
	.protected	bluestein_single_fwd_len510_dim1_dp_op_CI_CI ; -- Begin function bluestein_single_fwd_len510_dim1_dp_op_CI_CI
	.globl	bluestein_single_fwd_len510_dim1_dp_op_CI_CI
	.p2align	8
	.type	bluestein_single_fwd_len510_dim1_dp_op_CI_CI,@function
bluestein_single_fwd_len510_dim1_dp_op_CI_CI: ; @bluestein_single_fwd_len510_dim1_dp_op_CI_CI
; %bb.0:
	s_load_dwordx4 s[8:11], s[0:1], 0x28
	v_mul_u32_u24_e32 v1, 0x788, v0
	v_lshrrev_b32_e32 v2, 16, v1
	v_mad_u64_u32 v[4:5], s[2:3], s2, 7, v[2:3]
	v_mov_b32_e32 v3, 0
	v_mov_b32_e32 v5, v3
	s_waitcnt lgkmcnt(0)
	v_cmp_gt_u64_e32 vcc, s[8:9], v[4:5]
	s_and_saveexec_b64 s[2:3], vcc
	s_cbranch_execz .LBB0_23
; %bb.1:
	v_mul_lo_u16_e32 v1, 34, v2
	s_mov_b32 s2, 0x24924925
	v_sub_u16_e32 v2, v0, v1
	v_mul_hi_u32 v0, v4, s2
	v_sub_u32_e32 v1, v4, v0
	v_lshrrev_b32_e32 v1, 1, v1
	v_add_u32_e32 v0, v1, v0
	s_load_dwordx2 s[8:9], s[0:1], 0x0
	s_load_dwordx2 s[12:13], s[0:1], 0x38
	v_lshrrev_b32_e32 v0, 2, v0
	v_mul_lo_u32 v0, v0, 7
	v_sub_u32_e32 v0, v4, v0
	v_mul_u32_u24_e32 v130, 0x1fe, v0
	v_accvgpr_write_b32 a0, v2
	v_accvgpr_write_b32 a2, v4
	v_cmp_gt_u16_e32 vcc, 30, v2
	v_accvgpr_write_b32 a1, v3
	v_lshlrev_b32_e32 v230, 4, v2
	v_lshlrev_b32_e32 v231, 4, v130
	s_and_saveexec_b64 s[14:15], vcc
	s_cbranch_execz .LBB0_3
; %bb.2:
	s_load_dwordx2 s[2:3], s[0:1], 0x18
	v_accvgpr_read_b32 v10, a2
	v_accvgpr_read_b32 v47, a1
	;; [unrolled: 1-line block ×3, first 2 shown]
	v_mov_b32_e32 v0, s10
	s_waitcnt lgkmcnt(0)
	s_load_dwordx4 s[4:7], s[2:3], 0x0
	v_mov_b32_e32 v1, s11
	v_mov_b32_e32 v47, v231
	;; [unrolled: 1-line block ×4, first 2 shown]
	s_waitcnt lgkmcnt(0)
	v_mad_u64_u32 v[2:3], s[2:3], s6, v10, 0
	v_mad_u64_u32 v[4:5], s[2:3], s4, v46, 0
	v_mov_b32_e32 v6, v3
	v_mov_b32_e32 v8, v5
	v_mad_u64_u32 v[6:7], s[2:3], s7, v10, v[6:7]
	v_mov_b32_e32 v3, v6
	v_mad_u64_u32 v[6:7], s[2:3], s5, v46, v[8:9]
	v_mov_b32_e32 v5, v6
	v_lshl_add_u64 v[40:41], v[2:3], 4, v[0:1]
	v_lshl_add_u64 v[42:43], v[4:5], 4, v[40:41]
	global_load_dwordx4 v[0:3], v230, s[8:9]
	global_load_dwordx4 v[4:7], v[42:43], off
	s_movk_i32 s2, 0x1000
	v_lshl_add_u64 v[50:51], s[8:9], 0, v[230:231]
	s_mul_i32 s10, s5, 0x1e0
	v_mad_u64_u32 v[42:43], s[6:7], s4, v45, v[42:43]
	v_add_u32_e32 v43, s10, v43
	v_add_co_u32_e64 v116, s[2:3], s2, v50
	v_lshl_add_u32 v44, v46, 4, v47
	global_load_dwordx4 v[8:11], v230, s[8:9] offset:480
	global_load_dwordx4 v[12:15], v230, s[8:9] offset:960
	;; [unrolled: 1-line block ×8, first 2 shown]
	v_or_b32_e32 v131, 0x1e0, v46
	v_mov_b32_e32 v231, v47
	global_load_dwordx4 v[46:49], v[42:43], off
	v_addc_co_u32_e64 v117, s[2:3], 0, v51, s[2:3]
	v_mad_u64_u32 v[42:43], s[2:3], s4, v45, v[42:43]
	v_add_u32_e32 v43, s10, v43
	v_lshlrev_b32_e32 v58, 4, v131
	global_load_dwordx4 v[50:53], v[42:43], off
	global_load_dwordx4 v[54:57], v58, s[8:9]
	v_mad_u64_u32 v[42:43], s[2:3], s4, v45, v[42:43]
	v_add_u32_e32 v43, s10, v43
	global_load_dwordx4 v[58:61], v[42:43], off
	v_mad_u64_u32 v[42:43], s[2:3], s4, v45, v[42:43]
	v_add_u32_e32 v43, s10, v43
	global_load_dwordx4 v[62:65], v[42:43], off
	global_load_dwordx4 v[66:69], v[116:117], off offset:224
	global_load_dwordx4 v[70:73], v[116:117], off offset:704
	v_mad_u64_u32 v[42:43], s[2:3], s4, v45, v[42:43]
	v_add_u32_e32 v43, s10, v43
	global_load_dwordx4 v[74:77], v[42:43], off
	v_mad_u64_u32 v[42:43], s[2:3], s4, v45, v[42:43]
	v_add_u32_e32 v43, s10, v43
	global_load_dwordx4 v[78:81], v[42:43], off
	global_load_dwordx4 v[82:85], v[116:117], off offset:1184
	global_load_dwordx4 v[86:89], v[116:117], off offset:1664
	v_mad_u64_u32 v[42:43], s[2:3], s4, v45, v[42:43]
	v_add_u32_e32 v43, s10, v43
	global_load_dwordx4 v[90:93], v[42:43], off
	v_mad_u64_u32 v[42:43], s[2:3], s4, v45, v[42:43]
	v_add_u32_e32 v43, s10, v43
	global_load_dwordx4 v[94:97], v[42:43], off
	v_mad_u64_u32 v[42:43], s[2:3], s4, v45, v[42:43]
	v_add_u32_e32 v43, s10, v43
	global_load_dwordx4 v[98:101], v[42:43], off
	v_mad_u64_u32 v[42:43], s[2:3], s4, v45, v[42:43]
	v_add_u32_e32 v43, s10, v43
	global_load_dwordx4 v[102:105], v[42:43], off
	v_mad_u64_u32 v[42:43], s[2:3], s4, v45, v[42:43]
	v_add_u32_e32 v43, s10, v43
	global_load_dwordx4 v[106:109], v[42:43], off
	v_mad_u64_u32 v[42:43], s[2:3], s4, v45, v[42:43]
	v_add_u32_e32 v43, s10, v43
	global_load_dwordx4 v[110:113], v[42:43], off
	v_mad_u64_u32 v[42:43], s[2:3], s4, v45, v[42:43]
	v_add_u32_e32 v43, s10, v43
	global_load_dwordx4 v[118:121], v[42:43], off
	v_mad_u64_u32 v[42:43], s[2:3], s4, v45, v[42:43]
	v_add_u32_e32 v43, s10, v43
	global_load_dwordx4 v[122:125], v[116:117], off offset:2144
	global_load_dwordx4 v[126:129], v[42:43], off
	global_load_dwordx4 v[132:135], v[116:117], off offset:2624
	v_mad_u64_u32 v[42:43], s[2:3], s4, v45, v[42:43]
	v_add_u32_e32 v43, s10, v43
	global_load_dwordx4 v[136:139], v[42:43], off
	global_load_dwordx4 v[140:143], v[116:117], off offset:3104
	v_mad_u64_u32 v[42:43], s[2:3], s4, v131, 0
	v_mov_b32_e32 v116, v43
	v_mad_u64_u32 v[116:117], s[2:3], s5, v131, v[116:117]
	v_mov_b32_e32 v43, v116
	v_lshl_add_u64 v[40:41], v[42:43], 4, v[40:41]
	global_load_dwordx4 v[40:43], v[40:41], off
	s_waitcnt vmcnt(32)
	v_mul_f64 v[114:115], v[6:7], v[2:3]
	v_mul_f64 v[2:3], v[4:5], v[2:3]
	v_fmac_f64_e32 v[114:115], v[4:5], v[0:1]
	v_fma_f64 v[116:117], v[6:7], v[0:1], -v[2:3]
	v_add_u32_e32 v4, v231, v230
	ds_write_b128 v44, v[114:117]
	s_waitcnt vmcnt(23)
	v_mul_f64 v[0:1], v[48:49], v[10:11]
	v_mul_f64 v[2:3], v[46:47], v[10:11]
	v_fmac_f64_e32 v[0:1], v[46:47], v[8:9]
	v_fma_f64 v[2:3], v[48:49], v[8:9], -v[2:3]
	ds_write_b128 v4, v[0:3] offset:480
	s_waitcnt vmcnt(22)
	v_mul_f64 v[0:1], v[52:53], v[14:15]
	v_mul_f64 v[2:3], v[50:51], v[14:15]
	v_fmac_f64_e32 v[0:1], v[50:51], v[12:13]
	v_fma_f64 v[2:3], v[52:53], v[12:13], -v[2:3]
	ds_write_b128 v4, v[0:3] offset:960
	;; [unrolled: 6-line block ×16, first 2 shown]
.LBB0_3:
	s_or_b64 exec, exec, s[14:15]
	s_waitcnt lgkmcnt(0)
	s_barrier
	s_waitcnt lgkmcnt(0)
                                        ; implicit-def: $vgpr4_vgpr5
                                        ; implicit-def: $vgpr8_vgpr9
                                        ; implicit-def: $vgpr12_vgpr13
                                        ; implicit-def: $vgpr16_vgpr17
                                        ; implicit-def: $vgpr20_vgpr21
                                        ; implicit-def: $vgpr24_vgpr25
                                        ; implicit-def: $vgpr28_vgpr29
                                        ; implicit-def: $vgpr32_vgpr33
                                        ; implicit-def: $vgpr44_vgpr45
                                        ; implicit-def: $vgpr48_vgpr49
                                        ; implicit-def: $vgpr52_vgpr53
                                        ; implicit-def: $vgpr56_vgpr57
                                        ; implicit-def: $vgpr60_vgpr61
                                        ; implicit-def: $vgpr64_vgpr65
                                        ; implicit-def: $vgpr68_vgpr69
                                        ; implicit-def: $vgpr72_vgpr73
                                        ; implicit-def: $vgpr76_vgpr77
	s_and_saveexec_b64 s[2:3], vcc
	s_cbranch_execz .LBB0_5
; %bb.4:
	v_lshl_add_u32 v0, v130, 4, v230
	ds_read_b128 v[4:7], v0
	ds_read_b128 v[8:11], v0 offset:480
	ds_read_b128 v[12:15], v0 offset:960
	;; [unrolled: 1-line block ×16, first 2 shown]
.LBB0_5:
	s_or_b64 exec, exec, s[2:3]
	s_mov_b32 s34, 0x5d8e7cdc
	s_load_dwordx2 s[2:3], s[0:1], 0x20
	s_load_dwordx2 s[10:11], s[0:1], 0x8
	s_waitcnt lgkmcnt(0)
	v_add_f64 v[112:113], v[10:11], -v[78:79]
	s_mov_b32 s0, 0x370991
	s_mov_b32 s35, 0xbfd71e95
	;; [unrolled: 1-line block ×3, first 2 shown]
	v_add_f64 v[152:153], v[8:9], v[76:77]
	v_add_f64 v[116:117], v[8:9], -v[76:77]
	s_mov_b32 s1, 0x3fedd6d0
	v_mul_f64 v[92:93], v[112:113], s[34:35]
	s_mov_b32 s16, 0x75d4884
	s_mov_b32 s27, 0xbfe58eea
	v_add_f64 v[114:115], v[14:15], -v[74:75]
	v_add_f64 v[154:155], v[10:11], v[78:79]
	v_mul_f64 v[94:95], v[116:117], s[34:35]
	v_fma_f64 v[0:1], s[0:1], v[152:153], v[92:93]
	s_mov_b32 s17, 0x3fe7a5f6
	v_add_f64 v[162:163], v[12:13], v[72:73]
	v_add_f64 v[118:119], v[12:13], -v[72:73]
	v_mul_f64 v[96:97], v[114:115], s[26:27]
	s_mov_b32 s30, 0xeb564b22
	v_add_f64 v[0:1], v[4:5], v[0:1]
	v_fma_f64 v[2:3], v[154:155], s[0:1], -v[94:95]
	v_mul_f64 v[98:99], v[112:113], s[26:27]
	s_mov_b32 s28, 0x7c9e640b
	v_add_f64 v[164:165], v[14:15], v[74:75]
	v_mul_f64 v[100:101], v[118:119], s[26:27]
	v_fma_f64 v[80:81], s[16:17], v[162:163], v[96:97]
	s_mov_b32 s20, 0x3259b75e
	s_mov_b32 s31, 0xbfefdd0d
	v_add_f64 v[2:3], v[6:7], v[2:3]
	v_mul_f64 v[102:103], v[116:117], s[26:27]
	v_fma_f64 v[36:37], s[16:17], v[152:153], v[98:99]
	s_mov_b32 s4, 0x2b2883cd
	s_mov_b32 s29, 0xbfeca52d
	v_add_f64 v[0:1], v[80:81], v[0:1]
	v_fma_f64 v[80:81], v[164:165], s[16:17], -v[100:101]
	s_mov_b32 s21, 0x3fb79ee6
	v_mul_f64 v[106:107], v[114:115], s[30:31]
	s_mov_b32 s38, 0x6c9a05f6
	v_add_f64 v[36:37], v[4:5], v[36:37]
	v_fma_f64 v[38:39], v[154:155], s[16:17], -v[102:103]
	s_mov_b32 s5, 0x3fdc86fa
	v_mul_f64 v[144:145], v[112:113], s[28:29]
	v_add_f64 v[2:3], v[80:81], v[2:3]
	v_mul_f64 v[110:111], v[118:119], s[30:31]
	v_fma_f64 v[80:81], s[20:21], v[162:163], v[106:107]
	s_mov_b32 s14, 0x6ed5f1bb
	s_mov_b32 s39, 0xbfe9895b
	v_add_f64 v[38:39], v[6:7], v[38:39]
	v_mul_f64 v[180:181], v[116:117], s[28:29]
	v_fma_f64 v[40:41], s[4:5], v[152:153], v[144:145]
	v_add_f64 v[36:37], v[80:81], v[36:37]
	v_fma_f64 v[80:81], v[164:165], s[20:21], -v[110:111]
	s_mov_b32 s15, 0xbfe348c8
	v_mul_f64 v[178:179], v[114:115], s[38:39]
	v_add_f64 v[40:41], v[4:5], v[40:41]
	v_fma_f64 v[42:43], v[154:155], s[4:5], -v[180:181]
	v_add_f64 v[38:39], v[80:81], v[38:39]
	v_mul_f64 v[206:207], v[118:119], s[38:39]
	v_fma_f64 v[80:81], s[14:15], v[162:163], v[178:179]
	v_add_f64 v[238:239], v[18:19], -v[70:71]
	v_add_f64 v[42:43], v[6:7], v[42:43]
	v_add_f64 v[40:41], v[80:81], v[40:41]
	v_fma_f64 v[80:81], v[164:165], s[14:15], -v[206:207]
	v_add_f64 v[174:175], v[16:17], v[68:69]
	v_add_f64 v[224:225], v[16:17], -v[68:69]
	v_mul_f64 v[104:105], v[238:239], s[28:29]
	v_add_f64 v[42:43], v[80:81], v[42:43]
	v_add_f64 v[176:177], v[18:19], v[70:71]
	v_mul_f64 v[108:109], v[224:225], s[28:29]
	v_fma_f64 v[80:81], s[4:5], v[174:175], v[104:105]
	v_add_f64 v[80:81], v[80:81], v[0:1]
	v_fma_f64 v[0:1], v[176:177], s[4:5], -v[108:109]
	v_mul_f64 v[134:135], v[238:239], s[38:39]
	s_mov_b32 s42, 0xacd6c6b4
	v_add_f64 v[2:3], v[0:1], v[2:3]
	v_mul_f64 v[138:139], v[224:225], s[38:39]
	v_fma_f64 v[0:1], s[14:15], v[174:175], v[134:135]
	s_mov_b32 s18, 0x7faef3
	s_mov_b32 s43, 0x3fc7851a
	v_add_f64 v[36:37], v[0:1], v[36:37]
	v_fma_f64 v[0:1], v[176:177], s[14:15], -v[138:139]
	s_mov_b32 s19, 0xbfef7484
	v_mul_f64 v[198:199], v[238:239], s[42:43]
	v_add_f64 v[38:39], v[0:1], v[38:39]
	v_mul_f64 v[0:1], v[224:225], s[42:43]
	v_fma_f64 v[82:83], s[18:19], v[174:175], v[198:199]
	v_add_f64 v[244:245], v[22:23], -v[66:67]
	v_add_f64 v[40:41], v[82:83], v[40:41]
	v_fma_f64 v[82:83], v[176:177], s[18:19], -v[0:1]
	v_add_f64 v[186:187], v[20:21], v[64:65]
	v_add_f64 v[236:237], v[20:21], -v[64:65]
	v_mul_f64 v[132:133], v[244:245], s[30:31]
	v_add_f64 v[42:43], v[82:83], v[42:43]
	v_add_f64 v[188:189], v[22:23], v[66:67]
	v_mul_f64 v[136:137], v[236:237], s[30:31]
	v_fma_f64 v[82:83], s[20:21], v[186:187], v[132:133]
	s_mov_b32 s37, 0xbfc7851a
	s_mov_b32 s36, s42
	v_add_f64 v[80:81], v[82:83], v[80:81]
	v_fma_f64 v[82:83], v[188:189], s[20:21], -v[136:137]
	v_mul_f64 v[142:143], v[244:245], s[36:37]
	s_mov_b32 s40, 0x923c349f
	v_add_f64 v[2:3], v[82:83], v[2:3]
	v_mul_f64 v[148:149], v[236:237], s[36:37]
	v_fma_f64 v[82:83], s[18:19], v[186:187], v[142:143]
	s_mov_b32 s22, 0xc61f0d01
	s_mov_b32 s41, 0x3feec746
	v_add_f64 v[36:37], v[82:83], v[36:37]
	v_fma_f64 v[82:83], v[188:189], s[18:19], -v[148:149]
	s_mov_b32 s23, 0xbfd183b1
	v_mul_f64 v[218:219], v[244:245], s[40:41]
	v_add_f64 v[38:39], v[82:83], v[38:39]
	v_mul_f64 v[232:233], v[236:237], s[40:41]
	v_fma_f64 v[82:83], s[22:23], v[186:187], v[218:219]
	v_add_f64 v[252:253], v[26:27], -v[62:63]
	s_mov_b32 s49, 0xbfeec746
	s_mov_b32 s48, s40
	v_add_f64 v[40:41], v[82:83], v[40:41]
	v_fma_f64 v[82:83], v[188:189], s[22:23], -v[232:233]
	v_add_f64 v[194:195], v[24:25], v[60:61]
	v_add_f64 v[246:247], v[24:25], -v[60:61]
	v_mul_f64 v[140:141], v[252:253], s[48:49]
	s_mov_b32 s50, 0x4363dd80
	v_add_f64 v[42:43], v[82:83], v[42:43]
	v_add_f64 v[196:197], v[26:27], v[62:63]
	v_mul_f64 v[146:147], v[246:247], s[48:49]
	v_fma_f64 v[82:83], s[22:23], v[194:195], v[140:141]
	s_mov_b32 s24, 0x910ea3b9
	s_mov_b32 s51, 0x3fe0d888
	v_add_f64 v[80:81], v[82:83], v[80:81]
	v_fma_f64 v[82:83], v[196:197], s[22:23], -v[146:147]
	s_mov_b32 s25, 0xbfeb34fa
	v_mul_f64 v[168:169], v[252:253], s[50:51]
	v_add_f64 v[2:3], v[82:83], v[2:3]
	v_mul_f64 v[182:183], v[246:247], s[50:51]
	v_fma_f64 v[82:83], s[24:25], v[194:195], v[168:169]
	s_mov_b32 s45, 0x3fe58eea
	s_mov_b32 s44, s26
	v_add_f64 v[36:37], v[82:83], v[36:37]
	v_fma_f64 v[82:83], v[196:197], s[24:25], -v[182:183]
	v_mul_f64 v[228:229], v[252:253], s[44:45]
	v_add_f64 v[38:39], v[82:83], v[38:39]
	v_mul_f64 v[240:241], v[246:247], s[44:45]
	v_fma_f64 v[82:83], s[16:17], v[194:195], v[228:229]
	v_add_f64 v[122:123], v[30:31], -v[58:59]
	v_add_f64 v[40:41], v[82:83], v[40:41]
	v_fma_f64 v[82:83], v[196:197], s[16:17], -v[240:241]
	v_add_f64 v[208:209], v[28:29], v[56:57]
	v_add_f64 v[120:121], v[28:29], -v[56:57]
	v_mul_f64 v[166:167], v[122:123], s[38:39]
	v_add_f64 v[42:43], v[82:83], v[42:43]
	v_add_f64 v[210:211], v[30:31], v[58:59]
	v_mul_f64 v[170:171], v[120:121], s[38:39]
	v_fma_f64 v[82:83], s[14:15], v[208:209], v[166:167]
	v_add_f64 v[80:81], v[82:83], v[80:81]
	v_fma_f64 v[82:83], v[210:211], s[14:15], -v[170:171]
	v_mul_f64 v[184:185], v[122:123], s[40:41]
	v_add_f64 v[2:3], v[82:83], v[2:3]
	v_mul_f64 v[200:201], v[120:121], s[40:41]
	v_fma_f64 v[82:83], s[22:23], v[208:209], v[184:185]
	v_add_f64 v[36:37], v[82:83], v[36:37]
	v_fma_f64 v[82:83], v[210:211], s[22:23], -v[200:201]
	v_mul_f64 v[234:235], v[122:123], s[34:35]
	v_add_f64 v[38:39], v[82:83], v[38:39]
	v_mul_f64 v[248:249], v[120:121], s[34:35]
	v_fma_f64 v[82:83], s[0:1], v[208:209], v[234:235]
	v_add_f64 v[128:129], v[34:35], -v[54:55]
	s_mov_b32 s47, 0xbfe0d888
	s_mov_b32 s46, s50
	v_add_f64 v[40:41], v[82:83], v[40:41]
	v_fma_f64 v[82:83], v[210:211], s[0:1], -v[248:249]
	v_add_f64 v[214:215], v[32:33], v[52:53]
	v_add_f64 v[126:127], v[32:33], -v[52:53]
	v_mul_f64 v[172:173], v[128:129], s[46:47]
	v_add_f64 v[42:43], v[82:83], v[42:43]
	v_add_f64 v[212:213], v[34:35], v[54:55]
	v_mul_f64 v[190:191], v[126:127], s[46:47]
	v_fma_f64 v[82:83], s[24:25], v[214:215], v[172:173]
	s_mov_b32 s55, 0x3feca52d
	s_mov_b32 s54, s28
	v_add_f64 v[84:85], v[82:83], v[80:81]
	v_fma_f64 v[80:81], v[212:213], s[24:25], -v[190:191]
	v_mul_f64 v[202:203], v[128:129], s[54:55]
	v_add_f64 v[86:87], v[80:81], v[2:3]
	v_mul_f64 v[220:221], v[126:127], s[54:55]
	v_fma_f64 v[2:3], s[4:5], v[214:215], v[202:203]
	v_add_f64 v[36:37], v[2:3], v[36:37]
	v_fma_f64 v[2:3], v[212:213], s[4:5], -v[220:221]
	v_mul_f64 v[242:243], v[128:129], s[30:31]
	v_add_f64 v[38:39], v[2:3], v[38:39]
	v_mul_f64 v[254:255], v[126:127], s[30:31]
	v_fma_f64 v[2:3], s[20:21], v[214:215], v[242:243]
	v_add_f64 v[88:89], v[2:3], v[40:41]
	v_fma_f64 v[2:3], v[212:213], s[20:21], -v[254:255]
	v_add_f64 v[82:83], v[46:47], -v[50:51]
	v_add_f64 v[90:91], v[2:3], v[42:43]
	v_add_f64 v[2:3], v[44:45], v[48:49]
	v_add_f64 v[80:81], v[44:45], -v[48:49]
	v_mul_f64 v[192:193], v[82:83], s[36:37]
	v_add_f64 v[222:223], v[46:47], v[50:51]
	v_mul_f64 v[204:205], v[80:81], s[36:37]
	v_fma_f64 v[40:41], s[18:19], v[2:3], v[192:193]
	s_mov_b32 s53, 0x3fd71e95
	s_mov_b32 s52, s34
	v_add_f64 v[84:85], v[40:41], v[84:85]
	v_fma_f64 v[40:41], v[222:223], s[18:19], -v[204:205]
	v_mul_f64 v[216:217], v[82:83], s[52:53]
	v_add_f64 v[86:87], v[40:41], v[86:87]
	v_mul_f64 v[226:227], v[80:81], s[52:53]
	v_fma_f64 v[40:41], s[0:1], v[2:3], v[216:217]
	v_add_f64 v[40:41], v[40:41], v[36:37]
	v_fma_f64 v[36:37], v[222:223], s[0:1], -v[226:227]
	v_mul_f64 v[250:251], v[82:83], s[46:47]
	v_mul_f64 v[124:125], v[80:81], s[46:47]
	v_accvgpr_write_b32 a4, v84
	v_add_f64 v[42:43], v[36:37], v[38:39]
	v_fma_f64 v[36:37], s[24:25], v[2:3], v[250:251]
	v_fma_f64 v[38:39], v[222:223], s[24:25], -v[124:125]
	v_accvgpr_write_b32 a5, v85
	v_accvgpr_write_b32 a6, v86
	;; [unrolled: 1-line block ×3, first 2 shown]
	v_add_f64 v[36:37], v[36:37], v[88:89]
	v_add_f64 v[38:39], v[38:39], v[90:91]
	s_barrier
	s_and_saveexec_b64 s[6:7], vcc
	s_cbranch_execz .LBB0_7
; %bb.6:
	v_mul_f64 v[88:89], v[154:155], s[18:19]
	v_mul_f64 v[84:85], v[164:165], s[0:1]
	v_fma_f64 v[90:91], s[42:43], v[116:117], v[88:89]
	v_fma_f64 v[86:87], s[34:35], v[118:119], v[84:85]
	v_add_f64 v[90:91], v[6:7], v[90:91]
	v_add_f64 v[86:87], v[86:87], v[90:91]
	v_mul_f64 v[90:91], v[176:177], s[24:25]
	v_accvgpr_write_b32 a12, v92
	v_accvgpr_write_b32 a13, v93
	v_fma_f64 v[92:93], s[50:51], v[224:225], v[90:91]
	v_add_f64 v[86:87], v[92:93], v[86:87]
	v_mul_f64 v[92:93], v[188:189], s[16:17]
	v_accvgpr_write_b32 a16, v94
	v_accvgpr_write_b32 a17, v95
	v_fma_f64 v[94:95], s[26:27], v[236:237], v[92:93]
	v_add_f64 v[86:87], v[94:95], v[86:87]
	s_mov_b32 s57, 0x3fe9895b
	s_mov_b32 s56, s38
	v_mul_f64 v[94:95], v[196:197], s[14:15]
	v_accvgpr_write_b32 a14, v96
	v_accvgpr_write_b32 a15, v97
	v_fma_f64 v[96:97], s[56:57], v[246:247], v[94:95]
	v_add_f64 v[86:87], v[96:97], v[86:87]
	v_mul_f64 v[96:97], v[210:211], s[4:5]
	v_accvgpr_write_b32 a26, v98
	v_accvgpr_write_b32 a27, v99
	v_fma_f64 v[98:99], s[28:29], v[120:121], v[96:97]
	v_add_f64 v[86:87], v[98:99], v[86:87]
	;; [unrolled: 5-line block ×3, first 2 shown]
	v_mul_f64 v[100:101], v[112:113], s[36:37]
	v_accvgpr_write_b32 a38, v102
	v_accvgpr_write_b32 a24, v104
	;; [unrolled: 1-line block ×3, first 2 shown]
	v_fma_f64 v[102:103], s[18:19], v[152:153], v[100:101]
	v_accvgpr_write_b32 a25, v105
	v_mul_f64 v[104:105], v[114:115], s[52:53]
	v_accvgpr_write_b32 a34, v106
	v_add_f64 v[102:103], v[4:5], v[102:103]
	v_accvgpr_write_b32 a35, v107
	v_fma_f64 v[106:107], s[0:1], v[162:163], v[104:105]
	v_add_f64 v[102:103], v[106:107], v[102:103]
	v_mul_f64 v[106:107], v[238:239], s[46:47]
	v_accvgpr_write_b32 a30, v108
	v_accvgpr_write_b32 a31, v109
	v_fma_f64 v[108:109], s[24:25], v[174:175], v[106:107]
	v_add_f64 v[102:103], v[108:109], v[102:103]
	v_mul_f64 v[108:109], v[244:245], s[44:45]
	v_accvgpr_write_b32 a40, v110
	;; [unrolled: 5-line block ×6, first 2 shown]
	v_accvgpr_write_b32 a43, v139
	v_fma_f64 v[138:139], s[30:31], v[80:81], v[136:137]
	s_mov_b32 s59, 0x3fefdd0d
	s_mov_b32 s58, s30
	v_add_f64 v[158:159], v[138:139], v[86:87]
	v_mul_f64 v[138:139], v[82:83], s[58:59]
	v_fma_f64 v[86:87], s[20:21], v[2:3], v[138:139]
	v_fmac_f64_e32 v[88:89], s[36:37], v[116:117]
	v_add_f64 v[156:157], v[86:87], v[102:103]
	v_fmac_f64_e32 v[84:85], s[52:53], v[118:119]
	v_add_f64 v[86:87], v[6:7], v[88:89]
	v_fma_f64 v[88:89], v[152:153], s[18:19], -v[100:101]
	v_add_f64 v[84:85], v[84:85], v[86:87]
	v_fmac_f64_e32 v[90:91], s[46:47], v[224:225]
	v_fma_f64 v[86:87], v[162:163], s[0:1], -v[104:105]
	v_add_f64 v[88:89], v[4:5], v[88:89]
	v_add_f64 v[84:85], v[90:91], v[84:85]
	v_fmac_f64_e32 v[92:93], s[44:45], v[236:237]
	v_add_f64 v[86:87], v[86:87], v[88:89]
	v_fma_f64 v[88:89], v[174:175], s[24:25], -v[106:107]
	v_add_f64 v[84:85], v[92:93], v[84:85]
	v_fmac_f64_e32 v[94:95], s[38:39], v[246:247]
	v_add_f64 v[86:87], v[88:89], v[86:87]
	v_fma_f64 v[88:89], v[186:187], s[16:17], -v[108:109]
	;; [unrolled: 4-line block ×4, first 2 shown]
	v_add_f64 v[84:85], v[98:99], v[84:85]
	v_add_f64 v[86:87], v[88:89], v[86:87]
	v_fma_f64 v[88:89], v[214:215], s[22:23], -v[134:135]
	v_fmac_f64_e32 v[136:137], s[58:59], v[80:81]
	v_add_f64 v[88:89], v[88:89], v[86:87]
	v_add_f64 v[86:87], v[136:137], v[84:85]
	v_fma_f64 v[84:85], v[2:3], s[20:21], -v[138:139]
	v_mul_f64 v[92:93], v[154:155], s[24:25]
	v_add_f64 v[84:85], v[84:85], v[88:89]
	v_fma_f64 v[88:89], s[50:51], v[116:117], v[92:93]
	v_mul_f64 v[94:95], v[164:165], s[4:5]
	v_add_f64 v[88:89], v[6:7], v[88:89]
	v_fma_f64 v[90:91], s[28:29], v[118:119], v[94:95]
	;; [unrolled: 3-line block ×9, first 2 shown]
	v_add_f64 v[90:91], v[110:111], v[90:91]
	v_mul_f64 v[110:111], v[238:239], s[30:31]
	v_fma_f64 v[132:133], s[20:21], v[174:175], v[110:111]
	v_fmac_f64_e32 v[92:93], s[46:47], v[116:117]
	v_add_f64 v[90:91], v[132:133], v[90:91]
	v_mul_f64 v[132:133], v[244:245], s[56:57]
	v_fmac_f64_e32 v[94:95], s[54:55], v[118:119]
	v_add_f64 v[92:93], v[6:7], v[92:93]
	v_fma_f64 v[134:135], s[14:15], v[186:187], v[132:133]
	v_add_f64 v[92:93], v[94:95], v[92:93]
	v_fmac_f64_e32 v[96:97], s[30:31], v[224:225]
	v_add_f64 v[90:91], v[134:135], v[90:91]
	v_mul_f64 v[134:135], v[252:253], s[34:35]
	v_add_f64 v[92:93], v[96:97], v[92:93]
	v_fma_f64 v[96:97], v[152:153], s[24:25], -v[106:107]
	v_fma_f64 v[136:137], s[0:1], v[194:195], v[134:135]
	v_fma_f64 v[94:95], v[162:163], s[4:5], -v[108:109]
	v_add_f64 v[96:97], v[4:5], v[96:97]
	v_add_f64 v[90:91], v[136:137], v[90:91]
	v_mul_f64 v[136:137], v[122:123], s[36:37]
	v_fmac_f64_e32 v[98:99], s[56:57], v[236:237]
	v_add_f64 v[94:95], v[94:95], v[96:97]
	v_fma_f64 v[96:97], v[174:175], s[20:21], -v[110:111]
	v_fma_f64 v[138:139], s[18:19], v[208:209], v[136:137]
	v_add_f64 v[92:93], v[98:99], v[92:93]
	v_fmac_f64_e32 v[100:101], s[34:35], v[246:247]
	v_add_f64 v[94:95], v[96:97], v[94:95]
	v_fma_f64 v[96:97], v[186:187], s[14:15], -v[132:133]
	v_add_f64 v[90:91], v[138:139], v[90:91]
	v_mul_f64 v[138:139], v[128:129], s[44:45]
	v_accvgpr_write_b32 a44, v140
	v_accvgpr_write_b32 a46, v142
	v_add_f64 v[92:93], v[100:101], v[92:93]
	v_fmac_f64_e32 v[102:103], s[36:37], v[120:121]
	v_add_f64 v[94:95], v[96:97], v[94:95]
	v_fma_f64 v[96:97], v[194:195], s[0:1], -v[134:135]
	v_accvgpr_write_b32 a45, v141
	v_fma_f64 v[140:141], s[16:17], v[214:215], v[138:139]
	v_accvgpr_write_b32 a47, v143
	v_mul_f64 v[142:143], v[222:223], s[22:23]
	v_accvgpr_write_b32 a48, v144
	v_add_f64 v[92:93], v[102:103], v[92:93]
	v_fmac_f64_e32 v[104:105], s[44:45], v[126:127]
	v_add_f64 v[94:95], v[96:97], v[94:95]
	v_fma_f64 v[96:97], v[208:209], s[18:19], -v[136:137]
	v_add_f64 v[140:141], v[140:141], v[90:91]
	v_fma_f64 v[90:91], s[40:41], v[80:81], v[142:143]
	v_accvgpr_write_b32 a49, v145
	v_mul_f64 v[144:145], v[82:83], s[48:49]
	v_add_f64 v[92:93], v[104:105], v[92:93]
	v_add_f64 v[94:95], v[96:97], v[94:95]
	v_fma_f64 v[96:97], v[214:215], s[16:17], -v[138:139]
	v_fmac_f64_e32 v[142:143], s[48:49], v[80:81]
	v_add_f64 v[96:97], v[96:97], v[94:95]
	v_add_f64 v[94:95], v[142:143], v[92:93]
	v_fma_f64 v[92:93], v[2:3], s[22:23], -v[144:145]
	v_mul_f64 v[100:101], v[154:155], s[14:15]
	v_add_f64 v[92:93], v[92:93], v[96:97]
	v_fma_f64 v[96:97], s[56:57], v[116:117], v[100:101]
	v_mul_f64 v[102:103], v[164:165], s[22:23]
	v_add_f64 v[96:97], v[6:7], v[96:97]
	v_fma_f64 v[98:99], s[48:49], v[118:119], v[102:103]
	;; [unrolled: 3-line block ×9, first 2 shown]
	v_add_f64 v[90:91], v[90:91], v[88:89]
	v_fma_f64 v[88:89], s[22:23], v[2:3], v[144:145]
	v_add_f64 v[98:99], v[138:139], v[98:99]
	v_mul_f64 v[138:139], v[238:239], s[34:35]
	v_add_f64 v[88:89], v[88:89], v[140:141]
	v_fma_f64 v[140:141], s[0:1], v[174:175], v[138:139]
	v_add_f64 v[98:99], v[140:141], v[98:99]
	v_mul_f64 v[140:141], v[244:245], s[46:47]
	v_fma_f64 v[142:143], s[24:25], v[186:187], v[140:141]
	v_add_f64 v[98:99], v[142:143], v[98:99]
	v_mul_f64 v[142:143], v[252:253], s[58:59]
	;; [unrolled: 3-line block ×3, first 2 shown]
	v_accvgpr_write_b32 a50, v146
	v_accvgpr_write_b32 a51, v147
	v_fma_f64 v[146:147], s[16:17], v[208:209], v[144:145]
	v_accvgpr_write_b32 a18, v84
	v_add_f64 v[98:99], v[146:147], v[98:99]
	v_mul_f64 v[146:147], v[128:129], s[36:37]
	v_accvgpr_write_b32 a19, v85
	v_accvgpr_write_b32 a20, v86
	;; [unrolled: 1-line block ×3, first 2 shown]
	v_fma_f64 v[84:85], s[18:19], v[214:215], v[146:147]
	v_mul_f64 v[86:87], v[222:223], s[4:5]
	v_accvgpr_write_b32 a52, v148
	v_add_f64 v[84:85], v[84:85], v[98:99]
	v_fma_f64 v[98:99], s[28:29], v[80:81], v[86:87]
	v_accvgpr_write_b32 a53, v149
	v_mul_f64 v[148:149], v[82:83], s[54:55]
	v_add_f64 v[98:99], v[98:99], v[96:97]
	v_fma_f64 v[96:97], s[4:5], v[2:3], v[148:149]
	v_fmac_f64_e32 v[100:101], s[38:39], v[116:117]
	v_add_f64 v[96:97], v[96:97], v[84:85]
	v_fmac_f64_e32 v[102:103], s[40:41], v[118:119]
	v_add_f64 v[84:85], v[6:7], v[100:101]
	v_add_f64 v[84:85], v[102:103], v[84:85]
	v_fma_f64 v[102:103], v[152:153], s[14:15], -v[134:135]
	v_fmac_f64_e32 v[104:105], s[34:35], v[224:225]
	v_fma_f64 v[100:101], v[162:163], s[22:23], -v[136:137]
	v_add_f64 v[102:103], v[4:5], v[102:103]
	v_add_f64 v[84:85], v[104:105], v[84:85]
	v_fmac_f64_e32 v[106:107], s[46:47], v[236:237]
	v_add_f64 v[100:101], v[100:101], v[102:103]
	v_fma_f64 v[102:103], v[174:175], s[0:1], -v[138:139]
	v_add_f64 v[84:85], v[106:107], v[84:85]
	v_fmac_f64_e32 v[108:109], s[58:59], v[246:247]
	v_add_f64 v[100:101], v[102:103], v[100:101]
	v_fma_f64 v[102:103], v[186:187], s[24:25], -v[140:141]
	;; [unrolled: 4-line block ×4, first 2 shown]
	v_add_f64 v[84:85], v[132:133], v[84:85]
	v_add_f64 v[100:101], v[102:103], v[100:101]
	v_fma_f64 v[102:103], v[214:215], s[18:19], -v[146:147]
	v_fmac_f64_e32 v[86:87], s[54:55], v[80:81]
	v_add_f64 v[100:101], v[102:103], v[100:101]
	v_add_f64 v[102:103], v[86:87], v[84:85]
	v_fma_f64 v[84:85], v[2:3], s[4:5], -v[148:149]
	v_add_f64 v[100:101], v[84:85], v[100:101]
	v_mul_f64 v[84:85], v[154:155], s[22:23]
	v_fma_f64 v[86:87], s[40:41], v[116:117], v[84:85]
	v_mul_f64 v[108:109], v[164:165], s[24:25]
	v_add_f64 v[86:87], v[6:7], v[86:87]
	v_fma_f64 v[104:105], s[46:47], v[118:119], v[108:109]
	v_mul_f64 v[110:111], v[176:177], s[16:17]
	v_add_f64 v[86:87], v[104:105], v[86:87]
	;; [unrolled: 3-line block ×6, first 2 shown]
	v_fma_f64 v[104:105], s[52:53], v[126:127], v[138:139]
	v_mul_f64 v[140:141], v[112:113], s[48:49]
	v_fmac_f64_e32 v[84:85], s[48:49], v[116:117]
	v_add_f64 v[86:87], v[104:105], v[86:87]
	v_fma_f64 v[104:105], s[22:23], v[152:153], v[140:141]
	v_mul_f64 v[142:143], v[114:115], s[50:51]
	v_fmac_f64_e32 v[108:109], s[50:51], v[118:119]
	v_add_f64 v[84:85], v[6:7], v[84:85]
	v_add_f64 v[104:105], v[4:5], v[104:105]
	v_fma_f64 v[106:107], s[24:25], v[162:163], v[142:143]
	v_mul_f64 v[144:145], v[238:239], s[44:45]
	v_add_f64 v[84:85], v[108:109], v[84:85]
	v_fmac_f64_e32 v[110:111], s[44:45], v[224:225]
	v_add_f64 v[104:105], v[106:107], v[104:105]
	v_fma_f64 v[106:107], s[16:17], v[174:175], v[144:145]
	v_mul_f64 v[146:147], v[244:245], s[28:29]
	v_add_f64 v[84:85], v[110:111], v[84:85]
	v_fma_f64 v[110:111], v[152:153], s[22:23], -v[140:141]
	v_add_f64 v[104:105], v[106:107], v[104:105]
	v_fma_f64 v[106:107], s[4:5], v[186:187], v[146:147]
	v_mul_f64 v[148:149], v[252:253], s[36:37]
	v_fma_f64 v[108:109], v[162:163], s[24:25], -v[142:143]
	v_add_f64 v[110:111], v[4:5], v[110:111]
	v_accvgpr_write_b32 a8, v156
	v_add_f64 v[104:105], v[106:107], v[104:105]
	v_fma_f64 v[106:107], s[18:19], v[194:195], v[148:149]
	v_mul_f64 v[150:151], v[122:123], s[58:59]
	v_fmac_f64_e32 v[132:133], s[28:29], v[236:237]
	v_add_f64 v[108:109], v[108:109], v[110:111]
	v_fma_f64 v[110:111], v[174:175], s[16:17], -v[144:145]
	v_accvgpr_write_b32 a9, v157
	v_accvgpr_write_b32 a10, v158
	;; [unrolled: 1-line block ×3, first 2 shown]
	v_add_f64 v[104:105], v[106:107], v[104:105]
	v_fma_f64 v[106:107], s[20:21], v[208:209], v[150:151]
	v_mul_f64 v[156:157], v[128:129], s[34:35]
	v_add_f64 v[84:85], v[132:133], v[84:85]
	v_fmac_f64_e32 v[134:135], s[36:37], v[246:247]
	v_add_f64 v[108:109], v[110:111], v[108:109]
	v_fma_f64 v[110:111], v[186:187], s[4:5], -v[146:147]
	v_add_f64 v[104:105], v[106:107], v[104:105]
	v_fma_f64 v[106:107], s[0:1], v[214:215], v[156:157]
	v_mul_f64 v[158:159], v[222:223], s[14:15]
	v_add_f64 v[84:85], v[134:135], v[84:85]
	v_fmac_f64_e32 v[136:137], s[58:59], v[120:121]
	v_add_f64 v[108:109], v[110:111], v[108:109]
	v_fma_f64 v[110:111], v[194:195], s[18:19], -v[148:149]
	v_add_f64 v[104:105], v[106:107], v[104:105]
	v_fma_f64 v[106:107], s[56:57], v[80:81], v[158:159]
	v_add_f64 v[84:85], v[136:137], v[84:85]
	v_fmac_f64_e32 v[138:139], s[34:35], v[126:127]
	v_add_f64 v[108:109], v[110:111], v[108:109]
	v_fma_f64 v[110:111], v[208:209], s[20:21], -v[150:151]
	v_add_f64 v[106:107], v[106:107], v[86:87]
	v_mul_f64 v[86:87], v[82:83], s[38:39]
	v_add_f64 v[84:85], v[138:139], v[84:85]
	v_add_f64 v[108:109], v[110:111], v[108:109]
	v_fma_f64 v[110:111], v[214:215], s[0:1], -v[156:157]
	v_fmac_f64_e32 v[158:159], s[38:39], v[80:81]
	v_add_f64 v[108:109], v[110:111], v[108:109]
	v_add_f64 v[110:111], v[158:159], v[84:85]
	v_fma_f64 v[84:85], v[2:3], s[14:15], -v[86:87]
	v_add_f64 v[108:109], v[84:85], v[108:109]
	v_mul_f64 v[84:85], v[154:155], s[20:21]
	v_fma_f64 v[160:161], s[14:15], v[2:3], v[86:87]
	v_fma_f64 v[86:87], s[58:59], v[116:117], v[84:85]
	v_mul_f64 v[132:133], v[164:165], s[18:19]
	v_add_f64 v[86:87], v[6:7], v[86:87]
	v_fma_f64 v[134:135], s[42:43], v[118:119], v[132:133]
	v_add_f64 v[86:87], v[134:135], v[86:87]
	v_mul_f64 v[134:135], v[176:177], s[22:23]
	v_fma_f64 v[136:137], s[48:49], v[224:225], v[134:135]
	v_add_f64 v[86:87], v[136:137], v[86:87]
	v_mul_f64 v[136:137], v[188:189], s[0:1]
	;; [unrolled: 3-line block ×5, first 2 shown]
	v_fma_f64 v[144:145], s[38:39], v[126:127], v[142:143]
	v_mul_f64 v[146:147], v[112:113], s[30:31]
	v_add_f64 v[86:87], v[144:145], v[86:87]
	v_mul_f64 v[144:145], v[114:115], s[36:37]
	v_fma_f64 v[112:113], s[20:21], v[152:153], v[146:147]
	v_add_f64 v[112:113], v[4:5], v[112:113]
	v_fma_f64 v[114:115], s[18:19], v[162:163], v[144:145]
	v_mul_f64 v[148:149], v[238:239], s[40:41]
	v_add_f64 v[112:113], v[114:115], v[112:113]
	v_fma_f64 v[114:115], s[22:23], v[174:175], v[148:149]
	v_mul_f64 v[150:151], v[244:245], s[52:53]
	;; [unrolled: 3-line block ×7, first 2 shown]
	v_add_f64 v[114:115], v[114:115], v[86:87]
	v_fma_f64 v[86:87], s[16:17], v[2:3], v[82:83]
	v_fmac_f64_e32 v[84:85], s[30:31], v[116:117]
	v_add_f64 v[112:113], v[86:87], v[112:113]
	v_fmac_f64_e32 v[158:159], s[44:45], v[80:81]
	v_fmac_f64_e32 v[132:133], s[36:37], v[118:119]
	v_add_f64 v[80:81], v[6:7], v[84:85]
	v_fma_f64 v[86:87], v[152:153], s[20:21], -v[146:147]
	v_fmac_f64_e32 v[134:135], s[40:41], v[224:225]
	v_add_f64 v[80:81], v[132:133], v[80:81]
	v_fma_f64 v[84:85], v[162:163], s[18:19], -v[144:145]
	v_add_f64 v[86:87], v[4:5], v[86:87]
	v_fmac_f64_e32 v[136:137], s[52:53], v[236:237]
	v_add_f64 v[80:81], v[134:135], v[80:81]
	v_add_f64 v[84:85], v[84:85], v[86:87]
	v_fma_f64 v[86:87], v[174:175], s[22:23], -v[148:149]
	v_fmac_f64_e32 v[138:139], s[28:29], v[246:247]
	v_add_f64 v[80:81], v[136:137], v[80:81]
	v_add_f64 v[84:85], v[86:87], v[84:85]
	v_fma_f64 v[86:87], v[186:187], s[0:1], -v[150:151]
	;; [unrolled: 4-line block ×4, first 2 shown]
	v_add_f64 v[80:81], v[142:143], v[80:81]
	v_add_f64 v[84:85], v[86:87], v[84:85]
	v_fma_f64 v[86:87], v[214:215], s[14:15], -v[128:129]
	v_add_f64 v[84:85], v[86:87], v[84:85]
	v_add_f64 v[118:119], v[158:159], v[80:81]
	v_fma_f64 v[80:81], v[2:3], s[16:17], -v[82:83]
	v_add_f64 v[116:117], v[80:81], v[84:85]
	v_mul_f64 v[80:81], v[222:223], s[24:25]
	v_add_f64 v[80:81], v[124:125], v[80:81]
	v_mul_f64 v[122:123], v[176:177], s[18:19]
	v_mul_f64 v[124:125], v[154:155], s[4:5]
	v_add_f64 v[0:1], v[0:1], v[122:123]
	v_mul_f64 v[122:123], v[164:165], s[14:15]
	v_add_f64 v[124:125], v[180:181], v[124:125]
	v_add_f64 v[122:123], v[206:207], v[122:123]
	;; [unrolled: 1-line block ×3, first 2 shown]
	v_accvgpr_read_b32 v151, a49
	v_mul_f64 v[120:121], v[188:189], s[22:23]
	v_add_f64 v[122:123], v[122:123], v[124:125]
	v_mul_f64 v[128:129], v[152:153], s[4:5]
	v_accvgpr_read_b32 v150, a48
	v_mul_f64 v[86:87], v[196:197], s[16:17]
	v_add_f64 v[120:121], v[232:233], v[120:121]
	v_add_f64 v[0:1], v[0:1], v[122:123]
	v_mul_f64 v[146:147], v[162:163], s[14:15]
	v_add_f64 v[128:129], v[128:129], -v[150:151]
	v_mul_f64 v[84:85], v[210:211], s[0:1]
	v_add_f64 v[86:87], v[240:241], v[86:87]
	v_add_f64 v[0:1], v[120:121], v[0:1]
	v_mul_f64 v[140:141], v[174:175], s[18:19]
	v_add_f64 v[146:147], v[146:147], -v[178:179]
	v_add_f64 v[128:129], v[4:5], v[128:129]
	v_mul_f64 v[82:83], v[212:213], s[20:21]
	v_add_f64 v[84:85], v[248:249], v[84:85]
	v_add_f64 v[0:1], v[86:87], v[0:1]
	v_mul_f64 v[138:139], v[186:187], s[22:23]
	v_add_f64 v[140:141], v[140:141], -v[198:199]
	v_add_f64 v[128:129], v[146:147], v[128:129]
	v_add_f64 v[82:83], v[254:255], v[82:83]
	v_mul_f64 v[122:123], v[154:155], s[0:1]
	v_mul_f64 v[126:127], v[154:155], s[16:17]
	v_add_f64 v[0:1], v[84:85], v[0:1]
	v_add_f64 v[138:139], v[138:139], -v[218:219]
	v_mul_f64 v[150:151], v[176:177], s[4:5]
	v_mul_f64 v[154:155], v[176:177], s[14:15]
	v_add_f64 v[128:129], v[140:141], v[128:129]
	v_mul_f64 v[176:177], v[210:211], s[22:23]
	v_add_f64 v[104:105], v[160:161], v[104:105]
	v_add_f64 v[0:1], v[82:83], v[0:1]
	v_mul_f64 v[82:83], v[2:3], s[24:25]
	v_mul_f64 v[136:137], v[194:195], s[16:17]
	;; [unrolled: 1-line block ×4, first 2 shown]
	v_add_f64 v[128:129], v[138:139], v[128:129]
	v_mul_f64 v[138:139], v[194:195], s[22:23]
	v_mul_f64 v[160:161], v[194:195], s[24:25]
	;; [unrolled: 1-line block ×4, first 2 shown]
	v_add_f64 v[2:3], v[200:201], v[176:177]
	v_accvgpr_read_b32 v177, a53
	v_mul_f64 v[158:159], v[188:189], s[18:19]
	v_accvgpr_read_b32 v176, a52
	v_add_f64 v[158:159], v[176:177], v[158:159]
	v_accvgpr_read_b32 v177, a43
	v_accvgpr_read_b32 v176, a42
	v_add_f64 v[154:155], v[176:177], v[154:155]
	v_accvgpr_read_b32 v177, a41
	v_mul_f64 v[144:145], v[164:165], s[20:21]
	v_accvgpr_read_b32 v176, a40
	v_add_f64 v[144:145], v[176:177], v[144:145]
	v_accvgpr_read_b32 v177, a39
	v_accvgpr_read_b32 v176, a38
	v_add_f64 v[126:127], v[176:177], v[126:127]
	v_add_f64 v[126:127], v[6:7], v[126:127]
	;; [unrolled: 1-line block ×5, first 2 shown]
	v_accvgpr_read_b32 v159, a47
	v_accvgpr_read_b32 v158, a46
	v_add_f64 v[156:157], v[156:157], -v[158:159]
	v_accvgpr_read_b32 v159, a37
	v_mul_f64 v[124:125], v[152:153], s[0:1]
	v_mul_f64 v[120:121], v[152:153], s[16:17]
	;; [unrolled: 1-line block ×3, first 2 shown]
	v_accvgpr_read_b32 v158, a36
	v_add_f64 v[152:153], v[152:153], -v[158:159]
	v_accvgpr_read_b32 v159, a35
	v_mul_f64 v[142:143], v[162:163], s[20:21]
	v_accvgpr_read_b32 v158, a34
	v_add_f64 v[142:143], v[142:143], -v[158:159]
	v_accvgpr_read_b32 v159, a27
	v_accvgpr_read_b32 v158, a26
	v_add_f64 v[120:121], v[120:121], -v[158:159]
	v_add_f64 v[120:121], v[4:5], v[120:121]
	v_add_f64 v[120:121], v[142:143], v[120:121]
	;; [unrolled: 1-line block ×3, first 2 shown]
	v_mul_f64 v[148:149], v[174:175], s[4:5]
	v_mul_f64 v[174:175], v[208:209], s[22:23]
	v_add_f64 v[154:155], v[160:161], -v[168:169]
	v_add_f64 v[120:121], v[156:157], v[120:121]
	v_add_f64 v[144:145], v[174:175], -v[184:185]
	v_add_f64 v[120:121], v[154:155], v[120:121]
	;; [unrolled: 2-line block ×3, first 2 shown]
	v_accvgpr_read_b32 v143, a51
	v_accvgpr_read_b32 v145, a23
	v_mul_f64 v[84:85], v[164:165], s[16:17]
	v_add_f64 v[128:129], v[136:137], v[128:129]
	v_mul_f64 v[136:137], v[196:197], s[22:23]
	v_accvgpr_read_b32 v142, a50
	v_accvgpr_read_b32 v144, a22
	v_add_f64 v[136:137], v[142:143], v[136:137]
	v_accvgpr_read_b32 v143, a33
	v_add_f64 v[84:85], v[144:145], v[84:85]
	v_accvgpr_read_b32 v145, a17
	v_mul_f64 v[140:141], v[188:189], s[20:21]
	v_accvgpr_read_b32 v142, a32
	v_accvgpr_read_b32 v144, a16
	v_add_f64 v[140:141], v[142:143], v[140:141]
	v_accvgpr_read_b32 v143, a31
	v_add_f64 v[122:123], v[144:145], v[122:123]
	;; [unrolled: 2-line block ×3, first 2 shown]
	v_add_f64 v[142:143], v[142:143], v[150:151]
	v_add_f64 v[84:85], v[84:85], v[122:123]
	;; [unrolled: 1-line block ×5, first 2 shown]
	v_accvgpr_read_b32 v137, a15
	v_mul_f64 v[86:87], v[162:163], s[16:17]
	v_accvgpr_read_b32 v136, a14
	v_add_f64 v[86:87], v[86:87], -v[136:137]
	v_accvgpr_read_b32 v137, a13
	v_accvgpr_read_b32 v136, a12
	v_add_f64 v[124:125], v[124:125], -v[136:137]
	v_add_f64 v[124:125], v[4:5], v[124:125]
	v_add_f64 v[6:7], v[6:7], v[10:11]
	;; [unrolled: 1-line block ×3, first 2 shown]
	v_mul_f64 v[134:135], v[208:209], s[0:1]
	v_add_f64 v[6:7], v[6:7], v[14:15]
	v_add_f64 v[4:5], v[4:5], v[12:13]
	v_add_f64 v[132:133], v[82:83], -v[250:251]
	v_mul_f64 v[82:83], v[214:215], s[20:21]
	v_add_f64 v[134:135], v[134:135], -v[234:235]
	v_mul_f64 v[162:163], v[196:197], s[24:25]
	v_add_f64 v[6:7], v[6:7], v[18:19]
	v_add_f64 v[4:5], v[4:5], v[16:17]
	v_add_f64 v[82:83], v[82:83], -v[242:243]
	v_add_f64 v[128:129], v[134:135], v[128:129]
	v_add_f64 v[162:163], v[182:183], v[162:163]
	;; [unrolled: 1-line block ×5, first 2 shown]
	v_mul_f64 v[178:179], v[214:215], s[4:5]
	v_add_f64 v[126:127], v[162:163], v[126:127]
	v_add_f64 v[6:7], v[6:7], v[26:27]
	;; [unrolled: 1-line block ×3, first 2 shown]
	v_mul_f64 v[164:165], v[210:211], s[14:15]
	v_add_f64 v[82:83], v[80:81], v[0:1]
	v_add_f64 v[80:81], v[132:133], v[128:129]
	v_mul_f64 v[132:133], v[212:213], s[24:25]
	v_mul_f64 v[180:181], v[212:213], s[4:5]
	v_add_f64 v[2:3], v[2:3], v[126:127]
	v_add_f64 v[126:127], v[178:179], -v[202:203]
	v_add_f64 v[6:7], v[6:7], v[30:31]
	v_add_f64 v[4:5], v[4:5], v[28:29]
	v_mul_f64 v[0:1], v[222:223], s[0:1]
	v_add_f64 v[180:181], v[220:221], v[180:181]
	v_add_f64 v[120:121], v[126:127], v[120:121]
	;; [unrolled: 1-line block ×6, first 2 shown]
	v_mul_f64 v[134:135], v[208:209], s[14:15]
	v_add_f64 v[0:1], v[226:227], v[0:1]
	v_add_f64 v[2:3], v[180:181], v[2:3]
	;; [unrolled: 1-line block ×5, first 2 shown]
	v_mul_f64 v[188:189], v[222:223], s[18:19]
	v_add_f64 v[2:3], v[0:1], v[2:3]
	v_add_f64 v[0:1], v[194:195], -v[216:217]
	v_add_f64 v[84:85], v[126:127], v[84:85]
	v_add_f64 v[126:127], v[134:135], -v[166:167]
	v_accvgpr_read_b32 v135, a25
	v_add_f64 v[6:7], v[6:7], v[50:51]
	v_add_f64 v[4:5], v[4:5], v[48:49]
	v_mul_f64 v[128:129], v[214:215], s[24:25]
	v_add_f64 v[0:1], v[0:1], v[120:121]
	v_add_f64 v[120:121], v[204:205], v[188:189]
	v_accvgpr_read_b32 v133, a29
	v_accvgpr_read_b32 v134, a24
	v_add_f64 v[6:7], v[6:7], v[54:55]
	v_add_f64 v[4:5], v[4:5], v[52:53]
	;; [unrolled: 1-line block ×3, first 2 shown]
	v_add_f64 v[120:121], v[128:129], -v[172:173]
	v_accvgpr_read_b32 v129, a45
	v_accvgpr_read_b32 v132, a28
	v_add_f64 v[134:135], v[148:149], -v[134:135]
	v_add_f64 v[86:87], v[86:87], v[124:125]
	v_add_f64 v[6:7], v[6:7], v[58:59]
	;; [unrolled: 1-line block ×3, first 2 shown]
	v_accvgpr_read_b32 v128, a44
	v_add_f64 v[132:133], v[146:147], -v[132:133]
	v_add_f64 v[86:87], v[134:135], v[86:87]
	v_add_f64 v[6:7], v[6:7], v[62:63]
	;; [unrolled: 1-line block ×3, first 2 shown]
	v_add_f64 v[128:129], v[138:139], -v[128:129]
	v_add_f64 v[86:87], v[132:133], v[86:87]
	v_add_f64 v[6:7], v[6:7], v[66:67]
	;; [unrolled: 1-line block ×3, first 2 shown]
	v_accvgpr_read_b32 v9, a1
	v_add_f64 v[86:87], v[128:129], v[86:87]
	v_add_f64 v[6:7], v[6:7], v[70:71]
	;; [unrolled: 1-line block ×3, first 2 shown]
	v_accvgpr_read_b32 v8, a0
	v_add_f64 v[86:87], v[126:127], v[86:87]
	v_add_f64 v[6:7], v[6:7], v[74:75]
	;; [unrolled: 1-line block ×3, first 2 shown]
	v_mul_lo_u16_e32 v8, 17, v8
	v_add_f64 v[84:85], v[186:187], -v[192:193]
	v_add_f64 v[86:87], v[120:121], v[86:87]
	v_add_f64 v[6:7], v[6:7], v[78:79]
	;; [unrolled: 1-line block ×3, first 2 shown]
	v_add_lshl_u32 v8, v130, v8, 4
	v_add_f64 v[120:121], v[84:85], v[86:87]
	ds_write_b128 v8, v[4:7]
	ds_write_b128 v8, v[120:123] offset:16
	ds_write_b128 v8, v[0:3] offset:32
	ds_write_b128 v8, v[80:83] offset:48
	ds_write_b128 v8, v[116:119] offset:64
	ds_write_b128 v8, v[108:111] offset:80
	ds_write_b128 v8, v[100:103] offset:96
	ds_write_b128 v8, v[92:95] offset:112
	ds_write_b128 v8, a[18:21] offset:128
	ds_write_b128 v8, a[8:11] offset:144
	ds_write_b128 v8, v[88:91] offset:160
	ds_write_b128 v8, v[96:99] offset:176
	ds_write_b128 v8, v[104:107] offset:192
	ds_write_b128 v8, v[112:115] offset:208
	ds_write_b128 v8, v[36:39] offset:224
	ds_write_b128 v8, v[40:43] offset:240
	ds_write_b128 v8, a[4:7] offset:256
.LBB0_7:
	s_or_b64 exec, exec, s[6:7]
	v_accvgpr_read_b32 v0, a0
	v_add_lshl_u32 v20, v130, v0, 4
	s_waitcnt lgkmcnt(0)
	s_barrier
	ds_read_b128 v[68:71], v20
	ds_read_b128 v[64:67], v20 offset:544
	ds_read_b128 v[80:83], v20 offset:4624
	;; [unrolled: 1-line block ×13, first 2 shown]
	v_cmp_gt_u16_e64 s[0:1], 17, v0
	v_accvgpr_read_b32 v1, a1
	s_and_saveexec_b64 s[4:5], s[0:1]
	s_cbranch_execz .LBB0_9
; %bb.8:
	ds_read_b128 v[36:39], v20 offset:3808
	ds_read_b128 v[40:43], v20 offset:7888
.LBB0_9:
	s_or_b64 exec, exec, s[4:5]
	v_accvgpr_read_b32 v109, a1
	v_accvgpr_read_b32 v108, a0
	s_mov_b64 s[4:5], 0x44
	v_lshl_add_u64 v[100:101], v[108:109], 0, s[4:5]
	s_movk_i32 s4, 0xffef
	s_mov_b32 s5, -1
	v_lshl_add_u64 v[0:1], v[108:109], 0, s[4:5]
	v_lshl_add_u64 v[102:103], v[108:109], 0, 34
	v_cndmask_b32_e64 v1, v1, 0, s[0:1]
	v_cndmask_b32_e64 v0, v0, v108, s[0:1]
	s_movk_i32 s4, 0xf1
	v_lshl_add_u64 v[2:3], v[0:1], 4, s[10:11]
	v_mul_lo_u16_sdwa v1, v102, s4 dst_sel:DWORD dst_unused:UNUSED_PAD src0_sel:BYTE_0 src1_sel:DWORD
	v_lshrrev_b16_e32 v21, 12, v1
	v_mul_lo_u16_e32 v1, 17, v21
	v_sub_u16_e32 v28, v102, v1
	v_mov_b32_e32 v6, 4
	v_lshlrev_b32_sdwa v1, v6, v28 dst_sel:DWORD dst_unused:UNUSED_PAD src0_sel:DWORD src1_sel:BYTE_0
	global_load_dwordx4 v[12:15], v[2:3], off
	global_load_dwordx4 v[222:225], v1, s[10:11]
	v_add_u16_e32 v2, 0x88, v108
	v_mul_lo_u16_sdwa v3, v2, s4 dst_sel:DWORD dst_unused:UNUSED_PAD src0_sel:BYTE_0 src1_sel:DWORD
	v_add_u16_e32 v9, 0xaa, v108
	v_lshrrev_b16_e32 v31, 12, v3
	v_mul_lo_u16_sdwa v10, v9, s4 dst_sel:DWORD dst_unused:UNUSED_PAD src0_sel:BYTE_0 src1_sel:DWORD
	v_mul_lo_u16_e32 v8, 17, v31
	v_lshrrev_b16_e32 v33, 12, v10
	v_sub_u16_e32 v32, v2, v8
	v_mul_lo_u16_e32 v10, 17, v33
	v_lshlrev_b32_sdwa v8, v6, v32 dst_sel:DWORD dst_unused:UNUSED_PAD src0_sel:DWORD src1_sel:BYTE_0
	v_sub_u16_e32 v34, v9, v10
	v_mul_lo_u16_sdwa v5, v100, s4 dst_sel:DWORD dst_unused:UNUSED_PAD src0_sel:BYTE_0 src1_sel:DWORD
	v_lshlrev_b32_sdwa v9, v6, v34 dst_sel:DWORD dst_unused:UNUSED_PAD src0_sel:DWORD src1_sel:BYTE_0
	global_load_dwordx4 v[114:117], v8, s[10:11]
	global_load_dwordx4 v[110:113], v9, s[10:11]
	v_add_u16_e32 v8, 0xcc, v108
	v_lshrrev_b16_e32 v29, 12, v5
	v_mul_lo_u16_sdwa v9, v8, s4 dst_sel:DWORD dst_unused:UNUSED_PAD src0_sel:BYTE_0 src1_sel:DWORD
	v_mul_lo_u16_e32 v1, 17, v29
	v_lshrrev_b16_e32 v35, 12, v9
	v_sub_u16_e32 v30, v100, v1
	v_add_u16_e32 v1, 0x66, v108
	v_mul_lo_u16_e32 v9, 17, v35
	v_mul_lo_u16_sdwa v4, v1, s4 dst_sel:DWORD dst_unused:UNUSED_PAD src0_sel:BYTE_0 src1_sel:DWORD
	v_sub_u16_e32 v104, v8, v9
	v_lshlrev_b32_sdwa v8, v6, v104 dst_sel:DWORD dst_unused:UNUSED_PAD src0_sel:DWORD src1_sel:BYTE_0
	v_lshrrev_b16_e32 v105, 12, v4
	global_load_dwordx4 v[118:121], v8, s[10:11]
	v_mul_lo_u16_e32 v8, 17, v105
	v_sub_u16_e32 v106, v1, v8
	v_lshlrev_b32_sdwa v7, v6, v30 dst_sel:DWORD dst_unused:UNUSED_PAD src0_sel:DWORD src1_sel:BYTE_0
	v_lshlrev_b32_sdwa v6, v6, v106 dst_sel:DWORD dst_unused:UNUSED_PAD src0_sel:DWORD src1_sel:BYTE_0
	global_load_dwordx4 v[126:129], v7, s[10:11]
	global_load_dwordx4 v[122:125], v6, s[10:11]
	v_add_u32_e32 v6, 0xee, v108
	s_mov_b32 s4, 0xf0f1
	v_mul_u32_u24_sdwa v7, v6, s4 dst_sel:DWORD dst_unused:UNUSED_PAD src0_sel:WORD_0 src1_sel:DWORD
	v_lshrrev_b32_e32 v7, 20, v7
	v_mul_lo_u16_e32 v7, 17, v7
	v_sub_u16_e32 v216, v6, v7
	v_lshlrev_b32_e32 v6, 4, v216
	global_load_dwordx4 v[218:221], v6, s[10:11]
	s_load_dwordx4 s[4:7], s[2:3], 0x0
	v_cmp_lt_u16_e64 s[2:3], 16, v108
	s_waitcnt lgkmcnt(0)
	s_barrier
	s_waitcnt vmcnt(7)
	v_mul_f64 v[6:7], v[98:99], v[14:15]
	s_waitcnt vmcnt(6)
	v_mul_f64 v[10:11], v[82:83], v[224:225]
	v_mul_f64 v[8:9], v[96:97], v[14:15]
	v_fma_f64 v[6:7], v[96:97], v[12:13], -v[6:7]
	v_fma_f64 v[10:11], v[80:81], v[222:223], -v[10:11]
	v_accvgpr_write_b32 a12, v12
	v_accvgpr_write_b32 a13, v13
	v_accvgpr_write_b32 a14, v14
	v_accvgpr_write_b32 a15, v15
	v_fmac_f64_e32 v[8:9], v[98:99], v[12:13]
	v_mul_f64 v[12:13], v[80:81], v[224:225]
	v_fmac_f64_e32 v[12:13], v[82:83], v[222:223]
	v_add_f64 v[6:7], v[68:69], -v[6:7]
	v_add_f64 v[8:9], v[70:71], -v[8:9]
	s_waitcnt vmcnt(5)
	v_mul_f64 v[14:15], v[90:91], v[116:117]
	s_waitcnt vmcnt(4)
	v_mul_f64 v[18:19], v[94:95], v[112:113]
	v_mul_f64 v[26:27], v[92:93], v[112:113]
	v_fma_f64 v[18:19], v[92:93], v[110:111], -v[18:19]
	v_fmac_f64_e32 v[26:27], v[94:95], v[110:111]
	v_mul_f64 v[16:17], v[88:89], v[116:117]
	v_fma_f64 v[14:15], v[88:89], v[114:115], -v[14:15]
	v_fmac_f64_e32 v[16:17], v[90:91], v[114:115]
	v_accvgpr_write_b32 a20, v114
	v_accvgpr_write_b32 a16, v110
	;; [unrolled: 1-line block ×6, first 2 shown]
	s_waitcnt vmcnt(3)
	v_mul_f64 v[22:23], v[86:87], v[120:121]
	v_mul_f64 v[96:97], v[84:85], v[120:121]
	v_fma_f64 v[84:85], v[84:85], v[118:119], -v[22:23]
	v_fmac_f64_e32 v[96:97], v[86:87], v[118:119]
	v_accvgpr_write_b32 a24, v118
	s_waitcnt vmcnt(2)
	v_mul_f64 v[24:25], v[74:75], v[128:129]
	v_mul_f64 v[80:81], v[72:73], v[128:129]
	s_waitcnt vmcnt(1)
	v_mul_f64 v[82:83], v[78:79], v[124:125]
	v_mul_f64 v[98:99], v[76:77], v[124:125]
	v_fma_f64 v[72:73], v[72:73], v[126:127], -v[24:25]
	v_fmac_f64_e32 v[80:81], v[74:75], v[126:127]
	v_fma_f64 v[74:75], v[76:77], v[122:123], -v[82:83]
	v_fmac_f64_e32 v[98:99], v[78:79], v[122:123]
	v_fma_f64 v[24:25], v[70:71], 2.0, -v[8:9]
	s_waitcnt vmcnt(0)
	v_mul_f64 v[22:23], v[42:43], v[220:221]
	v_fma_f64 v[92:93], v[40:41], v[218:219], -v[22:23]
	v_mul_f64 v[94:95], v[40:41], v[220:221]
	v_add_f64 v[40:41], v[64:65], -v[10:11]
	v_cndmask_b32_e64 v10, 0, 34, s[2:3]
	v_add_u32_e32 v0, v0, v10
	v_add_lshl_u32 v217, v130, v0, 4
	v_mad_legacy_u16 v0, v21, 34, v28
	v_and_b32_e32 v0, 0xff, v0
	v_add_lshl_u32 v226, v130, v0, 4
	v_mul_u32_u24_e32 v0, 34, v29
	v_add_u32_sdwa v0, v0, v30 dst_sel:DWORD dst_unused:UNUSED_PAD src0_sel:DWORD src1_sel:BYTE_0
	v_add_lshl_u32 v227, v130, v0, 4
	v_mul_u32_u24_e32 v0, 34, v105
	v_fmac_f64_e32 v[94:95], v[42:43], v[218:219]
	v_fma_f64 v[22:23], v[68:69], 2.0, -v[6:7]
	v_add_f64 v[42:43], v[66:67], -v[12:13]
	v_add_f64 v[68:69], v[60:61], -v[72:73]
	v_add_f64 v[70:71], v[62:63], -v[80:81]
	v_add_f64 v[72:73], v[56:57], -v[74:75]
	v_add_f64 v[74:75], v[58:59], -v[98:99]
	v_add_u32_sdwa v0, v0, v106 dst_sel:DWORD dst_unused:UNUSED_PAD src0_sel:DWORD src1_sel:BYTE_0
	v_fma_f64 v[64:65], v[64:65], 2.0, -v[40:41]
	v_fma_f64 v[66:67], v[66:67], 2.0, -v[42:43]
	v_fma_f64 v[60:61], v[60:61], 2.0, -v[68:69]
	v_fma_f64 v[62:63], v[62:63], 2.0, -v[70:71]
	v_fma_f64 v[56:57], v[56:57], 2.0, -v[72:73]
	v_fma_f64 v[58:59], v[58:59], 2.0, -v[74:75]
	v_add_lshl_u32 v0, v130, v0, 4
	ds_write_b128 v217, v[22:25]
	ds_write_b128 v217, v[6:9] offset:272
	ds_write_b128 v226, v[64:67]
	ds_write_b128 v226, v[40:43] offset:272
	;; [unrolled: 2-line block ×3, first 2 shown]
	ds_write_b128 v0, v[56:59]
	v_accvgpr_write_b32 a38, v0
	ds_write_b128 v0, v[72:75] offset:272
	v_mul_u32_u24_e32 v0, 34, v31
	v_add_f64 v[76:77], v[52:53], -v[14:15]
	v_add_f64 v[78:79], v[54:55], -v[16:17]
	v_add_u32_sdwa v0, v0, v32 dst_sel:DWORD dst_unused:UNUSED_PAD src0_sel:DWORD src1_sel:BYTE_0
	v_fma_f64 v[52:53], v[52:53], 2.0, -v[76:77]
	v_fma_f64 v[54:55], v[54:55], 2.0, -v[78:79]
	v_add_lshl_u32 v0, v130, v0, 4
	ds_write_b128 v0, v[52:55]
	v_accvgpr_write_b32 a39, v0
	ds_write_b128 v0, v[76:79] offset:272
	v_mul_u32_u24_e32 v0, 34, v33
	v_add_f64 v[80:81], v[48:49], -v[18:19]
	v_add_f64 v[82:83], v[50:51], -v[26:27]
	v_add_u32_sdwa v0, v0, v34 dst_sel:DWORD dst_unused:UNUSED_PAD src0_sel:DWORD src1_sel:BYTE_0
	v_fma_f64 v[48:49], v[48:49], 2.0, -v[80:81]
	v_fma_f64 v[50:51], v[50:51], 2.0, -v[82:83]
	v_add_lshl_u32 v0, v130, v0, 4
	ds_write_b128 v0, v[48:51]
	v_accvgpr_write_b32 a40, v0
	ds_write_b128 v0, v[80:83] offset:272
	v_mul_u32_u24_e32 v0, 34, v35
	v_add_u32_sdwa v0, v0, v104 dst_sel:DWORD dst_unused:UNUSED_PAD src0_sel:DWORD src1_sel:BYTE_0
	v_accvgpr_write_b32 a32, v126
	v_accvgpr_write_b32 a28, v122
	v_add_f64 v[84:85], v[44:45], -v[84:85]
	v_add_f64 v[86:87], v[46:47], -v[96:97]
	v_add_lshl_u32 v0, v130, v0, 4
	v_accvgpr_write_b32 a18, v112
	v_accvgpr_write_b32 a19, v113
	;; [unrolled: 1-line block ×11, first 2 shown]
	v_fma_f64 v[88:89], v[44:45], 2.0, -v[84:85]
	v_fma_f64 v[90:91], v[46:47], 2.0, -v[86:87]
	v_add_f64 v[116:117], v[36:37], -v[92:93]
	v_add_f64 v[118:119], v[38:39], -v[94:95]
	v_accvgpr_write_b32 a41, v0
	ds_write_b128 v0, v[88:91]
	ds_write_b128 v0, v[84:87] offset:272
	s_mov_b64 s[2:3], exec
	v_accvgpr_read_b32 v29, a7
	s_and_b64 s[14:15], s[2:3], s[0:1]
	v_accvgpr_read_b32 v28, a6
	v_accvgpr_read_b32 v27, a5
	;; [unrolled: 1-line block ×3, first 2 shown]
	s_mov_b64 exec, s[14:15]
	s_cbranch_execz .LBB0_11
; %bb.10:
	v_fma_f64 v[8:9], v[38:39], 2.0, -v[118:119]
	v_fma_f64 v[6:7], v[36:37], 2.0, -v[116:117]
	v_add_lshl_u32 v0, v130, v216, 4
	ds_write_b128 v0, v[6:9] offset:7616
	ds_write_b128 v0, v[116:119] offset:7888
.LBB0_11:
	s_or_b64 exec, exec, s[2:3]
	v_accvgpr_read_b32 v24, a0
	v_lshlrev_b32_e32 v0, 5, v24
	s_waitcnt lgkmcnt(0)
	s_barrier
	global_load_dwordx4 v[40:43], v0, s[10:11] offset:272
	global_load_dwordx4 v[36:39], v0, s[10:11] offset:288
	v_lshrrev_b16_e32 v0, 13, v5
	v_mul_lo_u16_e32 v0, 34, v0
	v_lshrrev_b16_e32 v4, 13, v4
	v_sub_u16_e32 v0, v100, v0
	v_mul_lo_u16_e32 v4, 34, v4
	v_and_b32_e32 v21, 0xff, v0
	v_sub_u16_e32 v1, v1, v4
	v_lshlrev_b32_e32 v0, 5, v21
	global_load_dwordx4 v[50:53], v0, s[10:11] offset:288
	global_load_dwordx4 v[64:67], v0, s[10:11] offset:272
	v_and_b32_e32 v22, 0xff, v1
	v_lshlrev_b32_e32 v0, 5, v22
	global_load_dwordx4 v[30:33], v0, s[10:11] offset:288
	global_load_dwordx4 v[54:57], v0, s[10:11] offset:272
	v_lshrrev_b16_e32 v3, 13, v3
	v_mul_lo_u16_e32 v3, 34, v3
	v_sub_u16_e32 v0, v2, v3
	v_and_b32_e32 v23, 0xff, v0
	v_lshlrev_b32_e32 v0, 5, v23
	global_load_dwordx4 v[60:63], v0, s[10:11] offset:272
	global_load_dwordx4 v[46:49], v0, s[10:11] offset:288
	ds_read_b128 v[0:3], v20
	ds_read_b128 v[80:83], v20 offset:544
	ds_read_b128 v[4:7], v20 offset:5440
	;; [unrolled: 1-line block ×14, first 2 shown]
	s_mov_b32 s2, 0xe8584caa
	s_mov_b32 s3, 0x3febb67a
	;; [unrolled: 1-line block ×4, first 2 shown]
	s_waitcnt lgkmcnt(0)
	s_barrier
	s_mov_b32 s17, 0xbfee6f0e
	s_mov_b32 s19, 0xbfe2cf23
	s_waitcnt vmcnt(7)
	v_mul_f64 v[12:13], v[106:107], v[42:43]
	s_waitcnt vmcnt(6)
	v_mul_f64 v[16:17], v[6:7], v[38:39]
	v_mul_f64 v[14:15], v[104:105], v[42:43]
	;; [unrolled: 1-line block ×3, first 2 shown]
	v_fma_f64 v[12:13], v[104:105], v[40:41], -v[12:13]
	v_fma_f64 v[16:17], v[4:5], v[36:37], -v[16:17]
	v_mul_f64 v[126:127], v[10:11], v[38:39]
	v_mul_f64 v[128:129], v[8:9], v[38:39]
	v_fmac_f64_e32 v[14:15], v[106:107], v[40:41]
	v_fmac_f64_e32 v[18:19], v[6:7], v[36:37]
	v_add_f64 v[6:7], v[12:13], v[16:17]
	v_fma_f64 v[104:105], v[8:9], v[36:37], -v[126:127]
	v_fmac_f64_e32 v[128:129], v[10:11], v[36:37]
	v_add_f64 v[4:5], v[0:1], v[12:13]
	v_add_f64 v[10:11], v[14:15], -v[18:19]
	v_fmac_f64_e32 v[0:1], -0.5, v[6:7]
	s_waitcnt vmcnt(5)
	v_mul_f64 v[8:9], v[94:95], v[52:53]
	v_mul_f64 v[44:45], v[86:87], v[42:43]
	s_waitcnt vmcnt(4)
	v_mul_f64 v[6:7], v[90:91], v[66:67]
	v_fma_f64 v[146:147], v[92:93], v[50:51], -v[8:9]
	v_fma_f64 v[8:9], s[2:3], v[10:11], v[0:1]
	v_fmac_f64_e32 v[0:1], s[14:15], v[10:11]
	v_add_f64 v[10:11], v[14:15], v[18:19]
	v_fma_f64 v[44:45], v[84:85], v[40:41], -v[44:45]
	v_fma_f64 v[144:145], v[88:89], v[64:65], -v[6:7]
	v_add_f64 v[6:7], v[2:3], v[14:15]
	v_fmac_f64_e32 v[2:3], -0.5, v[10:11]
	v_add_f64 v[12:13], v[12:13], -v[16:17]
	v_mul_f64 v[124:125], v[84:85], v[42:43]
	s_waitcnt vmcnt(2)
	v_mul_f64 v[84:85], v[110:111], v[56:57]
	v_fma_f64 v[10:11], s[14:15], v[12:13], v[2:3]
	v_fmac_f64_e32 v[2:3], s[2:3], v[12:13]
	v_add_f64 v[12:13], v[80:81], v[44:45]
	v_fmac_f64_e32 v[124:125], v[86:87], v[40:41]
	v_fma_f64 v[148:149], v[108:109], v[54:55], -v[84:85]
	v_add_f64 v[84:85], v[12:13], v[104:105]
	v_add_f64 v[12:13], v[44:45], v[104:105]
	v_fmac_f64_e32 v[80:81], -0.5, v[12:13]
	v_add_f64 v[12:13], v[124:125], -v[128:129]
	v_mul_f64 v[106:107], v[88:89], v[66:67]
	v_mul_f64 v[132:133], v[108:109], v[56:57]
	;; [unrolled: 1-line block ×3, first 2 shown]
	v_fma_f64 v[88:89], s[2:3], v[12:13], v[80:81]
	v_fmac_f64_e32 v[80:81], s[14:15], v[12:13]
	v_add_f64 v[12:13], v[82:83], v[124:125]
	v_fmac_f64_e32 v[132:133], v[110:111], v[54:55]
	v_fma_f64 v[110:111], v[96:97], v[30:31], -v[86:87]
	v_add_f64 v[86:87], v[12:13], v[128:129]
	v_add_f64 v[12:13], v[124:125], v[128:129]
	v_fmac_f64_e32 v[82:83], -0.5, v[12:13]
	v_add_f64 v[12:13], v[44:45], -v[104:105]
	v_mul_f64 v[126:127], v[92:93], v[52:53]
	v_fmac_f64_e32 v[106:107], v[90:91], v[64:65]
	v_fma_f64 v[90:91], s[14:15], v[12:13], v[82:83]
	v_fmac_f64_e32 v[82:83], s[2:3], v[12:13]
	v_add_f64 v[12:13], v[76:77], v[144:145]
	v_fmac_f64_e32 v[126:127], v[94:95], v[50:51]
	v_add_f64 v[92:93], v[12:13], v[146:147]
	v_add_f64 v[12:13], v[144:145], v[146:147]
	v_fmac_f64_e32 v[76:77], -0.5, v[12:13]
	v_add_f64 v[12:13], v[106:107], -v[126:127]
	v_mul_f64 v[134:135], v[96:97], v[32:33]
	v_fma_f64 v[96:97], s[2:3], v[12:13], v[76:77]
	v_fmac_f64_e32 v[76:77], s[14:15], v[12:13]
	v_add_f64 v[12:13], v[78:79], v[106:107]
	v_add_f64 v[94:95], v[12:13], v[126:127]
	;; [unrolled: 1-line block ×3, first 2 shown]
	v_fmac_f64_e32 v[78:79], -0.5, v[12:13]
	v_add_f64 v[12:13], v[144:145], -v[146:147]
	v_fmac_f64_e32 v[134:135], v[98:99], v[30:31]
	v_fma_f64 v[98:99], s[14:15], v[12:13], v[78:79]
	v_fmac_f64_e32 v[78:79], s[2:3], v[12:13]
	v_add_f64 v[12:13], v[72:73], v[148:149]
	v_add_f64 v[104:105], v[12:13], v[110:111]
	v_add_f64 v[12:13], v[148:149], v[110:111]
	v_fmac_f64_e32 v[72:73], -0.5, v[12:13]
	v_add_f64 v[12:13], v[132:133], -v[134:135]
	v_fma_f64 v[108:109], s[2:3], v[12:13], v[72:73]
	v_fmac_f64_e32 v[72:73], s[14:15], v[12:13]
	v_add_f64 v[12:13], v[74:75], v[132:133]
	s_waitcnt vmcnt(1)
	v_mul_f64 v[136:137], v[114:115], v[62:63]
	v_add_f64 v[106:107], v[12:13], v[134:135]
	v_add_f64 v[12:13], v[132:133], v[134:135]
	s_waitcnt vmcnt(0)
	v_mul_f64 v[140:141], v[122:123], v[48:49]
	v_fma_f64 v[136:137], v[112:113], v[60:61], -v[136:137]
	v_fmac_f64_e32 v[74:75], -0.5, v[12:13]
	v_add_f64 v[12:13], v[148:149], -v[110:111]
	v_mul_f64 v[138:139], v[112:113], v[62:63]
	v_mul_f64 v[142:143], v[120:121], v[48:49]
	v_fma_f64 v[140:141], v[120:121], v[46:47], -v[140:141]
	v_fma_f64 v[110:111], s[14:15], v[12:13], v[74:75]
	v_fmac_f64_e32 v[74:75], s[2:3], v[12:13]
	v_add_f64 v[12:13], v[68:69], v[136:137]
	v_fmac_f64_e32 v[138:139], v[114:115], v[60:61]
	v_fmac_f64_e32 v[142:143], v[122:123], v[46:47]
	v_add_f64 v[112:113], v[12:13], v[140:141]
	v_add_f64 v[12:13], v[136:137], v[140:141]
	v_fmac_f64_e32 v[68:69], -0.5, v[12:13]
	v_add_f64 v[12:13], v[138:139], -v[142:143]
	v_fma_f64 v[120:121], s[2:3], v[12:13], v[68:69]
	v_fmac_f64_e32 v[68:69], s[14:15], v[12:13]
	v_add_f64 v[12:13], v[70:71], v[138:139]
	v_add_f64 v[4:5], v[4:5], v[16:17]
	;; [unrolled: 1-line block ×5, first 2 shown]
	v_fmac_f64_e32 v[70:71], -0.5, v[12:13]
	v_add_f64 v[12:13], v[136:137], -v[140:141]
	ds_write_b128 v20, v[4:7]
	ds_write_b128 v20, v[8:11] offset:544
	ds_write_b128 v20, v[0:3] offset:1088
	;; [unrolled: 1-line block ×5, first 2 shown]
	v_add_lshl_u32 v0, v130, v21, 4
	v_fma_f64 v[122:123], s[14:15], v[12:13], v[70:71]
	v_fmac_f64_e32 v[70:71], s[2:3], v[12:13]
	ds_write_b128 v0, v[92:95] offset:3264
	ds_write_b128 v0, v[96:99] offset:3808
	v_accvgpr_write_b32 a58, v0
	ds_write_b128 v0, v[76:79] offset:4352
	v_add_lshl_u32 v45, v130, v22, 4
	v_add_lshl_u32 v21, v130, v23, 4
	v_lshlrev_b32_e32 v0, 6, v24
	ds_write_b128 v45, v[104:107] offset:4896
	ds_write_b128 v45, v[108:111] offset:5440
	;; [unrolled: 1-line block ×6, first 2 shown]
	s_waitcnt lgkmcnt(0)
	s_barrier
	global_load_dwordx4 v[80:83], v0, s[10:11] offset:1360
	global_load_dwordx4 v[76:79], v0, s[10:11] offset:1376
	global_load_dwordx4 v[72:75], v0, s[10:11] offset:1392
	global_load_dwordx4 v[68:71], v0, s[10:11] offset:1408
	v_lshlrev_b64 v[0:1], 6, v[102:103]
	v_lshl_add_u64 v[0:1], s[10:11], 0, v[0:1]
	global_load_dwordx4 v[96:99], v[0:1], off offset:1360
	global_load_dwordx4 v[92:95], v[0:1], off offset:1376
	;; [unrolled: 1-line block ×4, first 2 shown]
	v_lshlrev_b64 v[0:1], 6, v[100:101]
	v_lshl_add_u64 v[0:1], s[10:11], 0, v[0:1]
	global_load_dwordx4 v[112:115], v[0:1], off offset:1360
	global_load_dwordx4 v[108:111], v[0:1], off offset:1376
	;; [unrolled: 1-line block ×4, first 2 shown]
	ds_read_b128 v[120:123], v20
	ds_read_b128 v[124:127], v20 offset:544
	ds_read_b128 v[0:3], v20 offset:3264
	;; [unrolled: 1-line block ×14, first 2 shown]
	s_mov_b32 s10, 0x134454ff
	s_mov_b32 s11, 0x3fee6f0e
	;; [unrolled: 1-line block ×8, first 2 shown]
	v_accvgpr_write_b32 a50, v50
	v_accvgpr_write_b32 a54, v54
	v_accvgpr_write_b32 a45, v33
	v_accvgpr_write_b32 a46, v46
	v_accvgpr_write_b32 a51, v51
	v_accvgpr_write_b32 a52, v52
	v_accvgpr_write_b32 a53, v53
	v_accvgpr_write_b32 a55, v55
	v_accvgpr_write_b32 a56, v56
	v_accvgpr_write_b32 a57, v57
	v_accvgpr_write_b32 a44, v32
	v_accvgpr_write_b32 a43, v31
	v_accvgpr_write_b32 a42, v30
	v_accvgpr_write_b32 a47, v47
	v_accvgpr_write_b32 a48, v48
	v_accvgpr_write_b32 a49, v49
	v_lshl_add_u32 v44, v24, 4, v231
	s_waitcnt vmcnt(11) lgkmcnt(8)
	v_mul_f64 v[14:15], v[132:133], v[82:83]
	s_waitcnt vmcnt(10)
	v_mul_f64 v[16:17], v[2:3], v[78:79]
	v_fma_f64 v[16:17], v[0:1], v[76:77], -v[16:17]
	v_mul_f64 v[18:19], v[0:1], v[78:79]
	s_waitcnt vmcnt(9) lgkmcnt(4)
	v_mul_f64 v[0:1], v[150:151], v[74:75]
	v_fma_f64 v[168:169], v[148:149], v[72:73], -v[0:1]
	s_waitcnt vmcnt(8)
	v_mul_f64 v[0:1], v[10:11], v[70:71]
	v_mul_f64 v[12:13], v[134:135], v[82:83]
	v_fmac_f64_e32 v[14:15], v[134:135], v[80:81]
	v_fma_f64 v[134:135], v[8:9], v[68:69], -v[0:1]
	s_waitcnt vmcnt(7)
	v_mul_f64 v[0:1], v[138:139], v[98:99]
	v_fma_f64 v[172:173], v[136:137], v[96:97], -v[0:1]
	s_waitcnt vmcnt(6)
	v_mul_f64 v[0:1], v[6:7], v[94:95]
	v_mul_f64 v[148:149], v[148:149], v[74:75]
	v_fma_f64 v[176:177], v[4:5], v[92:93], -v[0:1]
	s_waitcnt vmcnt(5) lgkmcnt(2)
	v_mul_f64 v[0:1], v[158:159], v[90:91]
	v_fmac_f64_e32 v[148:149], v[150:151], v[72:73]
	v_mul_f64 v[150:151], v[8:9], v[70:71]
	v_fma_f64 v[182:183], v[156:157], v[88:89], -v[0:1]
	s_waitcnt vmcnt(4)
	v_mul_f64 v[0:1], v[130:131], v[86:87]
	v_mul_f64 v[188:189], v[128:129], v[86:87]
	v_fmac_f64_e32 v[150:151], v[10:11], v[68:69]
	v_fma_f64 v[186:187], v[128:129], v[84:85], -v[0:1]
	v_fmac_f64_e32 v[188:189], v[130:131], v[84:85]
	s_waitcnt vmcnt(3)
	v_mul_f64 v[0:1], v[146:147], v[114:115]
	v_add_f64 v[130:131], v[16:17], v[168:169]
	v_fma_f64 v[12:13], v[132:133], v[80:81], -v[12:13]
	v_fmac_f64_e32 v[18:19], v[2:3], v[76:77]
	v_mul_f64 v[174:175], v[136:137], v[98:99]
	v_fma_f64 v[8:9], v[144:145], v[112:113], -v[0:1]
	v_mul_f64 v[0:1], v[144:145], v[114:115]
	v_fma_f64 v[136:137], -0.5, v[130:131], v[120:121]
	v_add_f64 v[130:131], v[14:15], -v[150:151]
	v_fmac_f64_e32 v[174:175], v[138:139], v[96:97]
	v_fmac_f64_e32 v[0:1], v[146:147], v[112:113]
	v_fma_f64 v[132:133], s[10:11], v[130:131], v[136:137]
	v_add_f64 v[138:139], v[18:19], -v[148:149]
	v_add_f64 v[144:145], v[12:13], -v[16:17]
	v_add_f64 v[146:147], v[134:135], -v[168:169]
	v_fmac_f64_e32 v[136:137], s[16:17], v[130:131]
	v_fmac_f64_e32 v[132:133], s[2:3], v[138:139]
	v_add_f64 v[144:145], v[144:145], v[146:147]
	v_fmac_f64_e32 v[136:137], s[18:19], v[138:139]
	v_fmac_f64_e32 v[132:133], s[14:15], v[144:145]
	;; [unrolled: 1-line block ×3, first 2 shown]
	v_add_f64 v[144:145], v[12:13], v[134:135]
	s_waitcnt vmcnt(2)
	v_mul_f64 v[2:3], v[154:155], v[110:111]
	v_add_f64 v[128:129], v[120:121], v[12:13]
	v_fmac_f64_e32 v[120:121], -0.5, v[144:145]
	v_fma_f64 v[10:11], v[152:153], v[108:109], -v[2:3]
	v_mul_f64 v[2:3], v[152:153], v[110:111]
	v_add_f64 v[128:129], v[128:129], v[16:17]
	v_fma_f64 v[144:145], s[16:17], v[138:139], v[120:121]
	v_add_f64 v[146:147], v[16:17], -v[12:13]
	v_add_f64 v[152:153], v[168:169], -v[134:135]
	v_fmac_f64_e32 v[120:121], s[10:11], v[138:139]
	v_add_f64 v[138:139], v[18:19], v[148:149]
	v_add_f64 v[128:129], v[128:129], v[168:169]
	v_fmac_f64_e32 v[144:145], s[2:3], v[130:131]
	v_add_f64 v[146:147], v[146:147], v[152:153]
	v_fmac_f64_e32 v[120:121], s[18:19], v[130:131]
	v_fma_f64 v[138:139], -0.5, v[138:139], v[122:123]
	v_add_f64 v[12:13], v[12:13], -v[134:135]
	v_add_f64 v[128:129], v[128:129], v[134:135]
	v_fmac_f64_e32 v[144:145], s[14:15], v[146:147]
	v_fmac_f64_e32 v[120:121], s[14:15], v[146:147]
	v_fma_f64 v[134:135], s[16:17], v[12:13], v[138:139]
	v_add_f64 v[16:17], v[16:17], -v[168:169]
	v_add_f64 v[146:147], v[14:15], -v[18:19]
	;; [unrolled: 1-line block ×3, first 2 shown]
	v_fmac_f64_e32 v[138:139], s[10:11], v[12:13]
	v_fmac_f64_e32 v[134:135], s[18:19], v[16:17]
	v_add_f64 v[146:147], v[146:147], v[152:153]
	v_fmac_f64_e32 v[138:139], s[2:3], v[16:17]
	v_fmac_f64_e32 v[134:135], s[14:15], v[146:147]
	;; [unrolled: 1-line block ×3, first 2 shown]
	v_add_f64 v[146:147], v[14:15], v[150:151]
	v_add_f64 v[130:131], v[122:123], v[14:15]
	v_fmac_f64_e32 v[122:123], -0.5, v[146:147]
	v_fma_f64 v[146:147], s[10:11], v[16:17], v[122:123]
	v_fmac_f64_e32 v[122:123], s[16:17], v[16:17]
	v_fmac_f64_e32 v[146:147], s[18:19], v[12:13]
	;; [unrolled: 1-line block ×3, first 2 shown]
	v_add_f64 v[12:13], v[124:125], v[172:173]
	v_add_f64 v[12:13], v[12:13], v[176:177]
	;; [unrolled: 1-line block ×4, first 2 shown]
	v_mul_f64 v[180:181], v[4:5], v[94:95]
	v_mul_f64 v[184:185], v[156:157], v[90:91]
	v_add_f64 v[130:131], v[130:131], v[148:149]
	v_add_f64 v[14:15], v[18:19], -v[14:15]
	v_add_f64 v[18:19], v[148:149], -v[150:151]
	v_add_f64 v[148:149], v[12:13], v[186:187]
	v_add_f64 v[12:13], v[176:177], v[182:183]
	v_fmac_f64_e32 v[180:181], v[6:7], v[92:93]
	v_fmac_f64_e32 v[184:185], v[158:159], v[88:89]
	v_add_f64 v[14:15], v[14:15], v[18:19]
	v_fma_f64 v[156:157], -0.5, v[12:13], v[124:125]
	v_add_f64 v[12:13], v[174:175], -v[188:189]
	v_fmac_f64_e32 v[146:147], s[14:15], v[14:15]
	v_fmac_f64_e32 v[122:123], s[14:15], v[14:15]
	v_fma_f64 v[152:153], s[10:11], v[12:13], v[156:157]
	v_add_f64 v[14:15], v[180:181], -v[184:185]
	v_add_f64 v[16:17], v[172:173], -v[176:177]
	;; [unrolled: 1-line block ×3, first 2 shown]
	v_fmac_f64_e32 v[156:157], s[16:17], v[12:13]
	v_fmac_f64_e32 v[152:153], s[2:3], v[14:15]
	v_add_f64 v[16:17], v[16:17], v[18:19]
	v_fmac_f64_e32 v[156:157], s[18:19], v[14:15]
	v_fmac_f64_e32 v[152:153], s[14:15], v[16:17]
	;; [unrolled: 1-line block ×3, first 2 shown]
	v_add_f64 v[16:17], v[172:173], v[186:187]
	s_waitcnt vmcnt(1) lgkmcnt(1)
	v_mul_f64 v[4:5], v[162:163], v[106:107]
	v_fmac_f64_e32 v[124:125], -0.5, v[16:17]
	v_fma_f64 v[178:179], v[160:161], v[104:105], -v[4:5]
	v_mul_f64 v[4:5], v[160:161], v[106:107]
	v_fma_f64 v[160:161], s[16:17], v[14:15], v[124:125]
	v_fmac_f64_e32 v[124:125], s[10:11], v[14:15]
	v_fmac_f64_e32 v[160:161], s[2:3], v[12:13]
	;; [unrolled: 1-line block ×3, first 2 shown]
	v_add_f64 v[12:13], v[126:127], v[174:175]
	v_add_f64 v[12:13], v[12:13], v[180:181]
	;; [unrolled: 1-line block ×4, first 2 shown]
	v_add_f64 v[16:17], v[176:177], -v[172:173]
	v_add_f64 v[18:19], v[182:183], -v[186:187]
	v_add_f64 v[150:151], v[12:13], v[188:189]
	v_add_f64 v[12:13], v[180:181], v[184:185]
	;; [unrolled: 1-line block ×3, first 2 shown]
	v_fma_f64 v[158:159], -0.5, v[12:13], v[126:127]
	v_add_f64 v[12:13], v[172:173], -v[186:187]
	v_fmac_f64_e32 v[2:3], v[154:155], v[108:109]
	v_fmac_f64_e32 v[160:161], s[14:15], v[16:17]
	;; [unrolled: 1-line block ×3, first 2 shown]
	v_fma_f64 v[154:155], s[16:17], v[12:13], v[158:159]
	v_add_f64 v[14:15], v[176:177], -v[182:183]
	v_add_f64 v[16:17], v[174:175], -v[180:181]
	;; [unrolled: 1-line block ×3, first 2 shown]
	v_fmac_f64_e32 v[158:159], s[10:11], v[12:13]
	v_fmac_f64_e32 v[154:155], s[18:19], v[14:15]
	v_add_f64 v[16:17], v[16:17], v[18:19]
	v_fmac_f64_e32 v[158:159], s[2:3], v[14:15]
	v_fmac_f64_e32 v[154:155], s[14:15], v[16:17]
	;; [unrolled: 1-line block ×3, first 2 shown]
	v_add_f64 v[16:17], v[174:175], v[188:189]
	v_fmac_f64_e32 v[126:127], -0.5, v[16:17]
	v_fmac_f64_e32 v[4:5], v[162:163], v[104:105]
	v_fma_f64 v[162:163], s[10:11], v[14:15], v[126:127]
	v_fmac_f64_e32 v[126:127], s[16:17], v[14:15]
	v_fmac_f64_e32 v[162:163], s[18:19], v[12:13]
	;; [unrolled: 1-line block ×3, first 2 shown]
	v_add_f64 v[12:13], v[140:141], v[8:9]
	s_waitcnt vmcnt(0) lgkmcnt(0)
	v_mul_f64 v[6:7], v[166:167], v[102:103]
	v_add_f64 v[12:13], v[12:13], v[10:11]
	v_fma_f64 v[170:171], v[164:165], v[100:101], -v[6:7]
	v_mul_f64 v[6:7], v[164:165], v[102:103]
	v_add_f64 v[12:13], v[12:13], v[178:179]
	v_fmac_f64_e32 v[6:7], v[166:167], v[100:101]
	v_add_f64 v[16:17], v[180:181], -v[174:175]
	v_add_f64 v[18:19], v[184:185], -v[188:189]
	v_add_f64 v[164:165], v[12:13], v[170:171]
	v_add_f64 v[12:13], v[10:11], v[178:179]
	;; [unrolled: 1-line block ×3, first 2 shown]
	v_fma_f64 v[172:173], -0.5, v[12:13], v[140:141]
	v_add_f64 v[12:13], v[0:1], -v[6:7]
	v_fmac_f64_e32 v[162:163], s[14:15], v[16:17]
	v_fmac_f64_e32 v[126:127], s[14:15], v[16:17]
	v_fma_f64 v[168:169], s[10:11], v[12:13], v[172:173]
	v_add_f64 v[14:15], v[2:3], -v[4:5]
	v_add_f64 v[16:17], v[8:9], -v[10:11]
	;; [unrolled: 1-line block ×3, first 2 shown]
	v_fmac_f64_e32 v[172:173], s[16:17], v[12:13]
	v_fmac_f64_e32 v[168:169], s[2:3], v[14:15]
	v_add_f64 v[16:17], v[16:17], v[18:19]
	v_fmac_f64_e32 v[172:173], s[18:19], v[14:15]
	v_fmac_f64_e32 v[168:169], s[14:15], v[16:17]
	;; [unrolled: 1-line block ×3, first 2 shown]
	v_add_f64 v[16:17], v[8:9], v[170:171]
	v_fmac_f64_e32 v[140:141], -0.5, v[16:17]
	v_fma_f64 v[176:177], s[16:17], v[14:15], v[140:141]
	v_fmac_f64_e32 v[140:141], s[10:11], v[14:15]
	v_fmac_f64_e32 v[176:177], s[2:3], v[12:13]
	;; [unrolled: 1-line block ×3, first 2 shown]
	v_add_f64 v[12:13], v[142:143], v[0:1]
	v_add_f64 v[12:13], v[12:13], v[2:3]
	;; [unrolled: 1-line block ×5, first 2 shown]
	v_add_f64 v[16:17], v[10:11], -v[8:9]
	v_fma_f64 v[174:175], -0.5, v[12:13], v[142:143]
	v_add_f64 v[8:9], v[8:9], -v[170:171]
	v_add_f64 v[18:19], v[178:179], -v[170:171]
	v_fma_f64 v[170:171], s[16:17], v[8:9], v[174:175]
	v_add_f64 v[10:11], v[10:11], -v[178:179]
	v_add_f64 v[12:13], v[0:1], -v[2:3]
	;; [unrolled: 1-line block ×3, first 2 shown]
	v_fmac_f64_e32 v[174:175], s[10:11], v[8:9]
	v_fmac_f64_e32 v[170:171], s[18:19], v[10:11]
	v_add_f64 v[12:13], v[12:13], v[14:15]
	v_fmac_f64_e32 v[174:175], s[2:3], v[10:11]
	v_fmac_f64_e32 v[170:171], s[14:15], v[12:13]
	;; [unrolled: 1-line block ×3, first 2 shown]
	v_add_f64 v[12:13], v[0:1], v[6:7]
	v_fmac_f64_e32 v[142:143], -0.5, v[12:13]
	v_fma_f64 v[178:179], s[10:11], v[10:11], v[142:143]
	v_add_f64 v[0:1], v[2:3], -v[0:1]
	v_add_f64 v[2:3], v[4:5], -v[6:7]
	v_fmac_f64_e32 v[142:143], s[16:17], v[10:11]
	v_add_f64 v[16:17], v[16:17], v[18:19]
	v_fmac_f64_e32 v[178:179], s[18:19], v[8:9]
	v_add_f64 v[0:1], v[0:1], v[2:3]
	v_fmac_f64_e32 v[142:143], s[2:3], v[8:9]
	v_fmac_f64_e32 v[176:177], s[14:15], v[16:17]
	;; [unrolled: 1-line block ×5, first 2 shown]
	ds_write_b128 v44, v[128:131]
	ds_write_b128 v44, v[132:135] offset:1632
	ds_write_b128 v44, v[144:147] offset:3264
	;; [unrolled: 1-line block ×14, first 2 shown]
	s_waitcnt lgkmcnt(0)
	s_barrier
	s_and_saveexec_b64 s[10:11], vcc
	s_cbranch_execz .LBB0_13
; %bb.12:
	s_add_u32 s14, s8, 0x1fe0
	s_addc_u32 s15, s9, 0
	v_mov_b32_e32 v6, v231
	v_mov_b32_e32 v231, 0
	v_lshl_add_u64 v[0:1], s[14:15], 0, v[230:231]
	v_mov_b32_e32 v231, v6
	global_load_dwordx4 v[6:9], v230, s[14:15]
	ds_read_b128 v[2:5], v44
	s_movk_i32 s2, 0x1000
	v_add_co_u32_e64 v0, s[2:3], s2, v0
	s_waitcnt vmcnt(0) lgkmcnt(0)
	v_mul_f64 v[10:11], v[4:5], v[8:9]
	v_mul_f64 v[182:183], v[2:3], v[8:9]
	v_fma_f64 v[180:181], v[2:3], v[6:7], -v[10:11]
	v_fmac_f64_e32 v[182:183], v[4:5], v[6:7]
	global_load_dwordx4 v[6:9], v230, s[14:15] offset:480
	ds_read_b128 v[2:5], v44 offset:480
	ds_write_b128 v44, v[180:183]
	v_addc_co_u32_e64 v1, s[2:3], 0, v1, s[2:3]
	s_waitcnt vmcnt(0) lgkmcnt(1)
	v_mul_f64 v[10:11], v[4:5], v[8:9]
	v_mul_f64 v[182:183], v[2:3], v[8:9]
	v_fma_f64 v[180:181], v[2:3], v[6:7], -v[10:11]
	v_fmac_f64_e32 v[182:183], v[4:5], v[6:7]
	global_load_dwordx4 v[6:9], v230, s[14:15] offset:960
	ds_read_b128 v[2:5], v44 offset:960
	ds_write_b128 v44, v[180:183] offset:480
	s_waitcnt vmcnt(0) lgkmcnt(1)
	v_mul_f64 v[10:11], v[4:5], v[8:9]
	v_mul_f64 v[182:183], v[2:3], v[8:9]
	v_fma_f64 v[180:181], v[2:3], v[6:7], -v[10:11]
	v_fmac_f64_e32 v[182:183], v[4:5], v[6:7]
	global_load_dwordx4 v[6:9], v230, s[14:15] offset:1440
	ds_read_b128 v[2:5], v44 offset:1440
	ds_write_b128 v44, v[180:183] offset:960
	;; [unrolled: 8-line block ×7, first 2 shown]
	s_waitcnt vmcnt(0) lgkmcnt(1)
	v_mul_f64 v[10:11], v[4:5], v[8:9]
	v_mul_f64 v[182:183], v[2:3], v[8:9]
	v_fma_f64 v[180:181], v[2:3], v[6:7], -v[10:11]
	v_fmac_f64_e32 v[182:183], v[4:5], v[6:7]
	global_load_dwordx4 v[6:9], v[0:1], off offset:224
	ds_read_b128 v[2:5], v44 offset:4320
	ds_write_b128 v44, v[180:183] offset:3840
	s_waitcnt vmcnt(0) lgkmcnt(1)
	v_mul_f64 v[10:11], v[4:5], v[8:9]
	v_mul_f64 v[182:183], v[2:3], v[8:9]
	v_fma_f64 v[180:181], v[2:3], v[6:7], -v[10:11]
	v_fmac_f64_e32 v[182:183], v[4:5], v[6:7]
	global_load_dwordx4 v[6:9], v[0:1], off offset:704
	ds_read_b128 v[2:5], v44 offset:4800
	ds_write_b128 v44, v[180:183] offset:4320
	;; [unrolled: 8-line block ×7, first 2 shown]
	ds_read_b128 v[180:183], v44 offset:7680
	s_waitcnt vmcnt(0) lgkmcnt(2)
	v_mul_f64 v[0:1], v[4:5], v[8:9]
	v_fma_f64 v[0:1], v[2:3], v[6:7], -v[0:1]
	v_mul_f64 v[2:3], v[2:3], v[8:9]
	v_fmac_f64_e32 v[2:3], v[4:5], v[6:7]
	ds_write_b128 v44, v[0:3] offset:7200
	v_or_b32_e32 v0, 0x1e00, v230
	global_load_dwordx4 v[184:187], v0, s[14:15]
	s_waitcnt vmcnt(0) lgkmcnt(1)
	v_mul_f64 v[0:1], v[182:183], v[186:187]
	v_mul_f64 v[2:3], v[180:181], v[186:187]
	v_fma_f64 v[0:1], v[180:181], v[184:185], -v[0:1]
	v_fmac_f64_e32 v[2:3], v[182:183], v[184:185]
	ds_write_b128 v44, v[0:3] offset:7680
.LBB0_13:
	s_or_b64 exec, exec, s[10:11]
	s_waitcnt lgkmcnt(0)
	s_barrier
	s_and_saveexec_b64 s[2:3], vcc
	s_cbranch_execz .LBB0_15
; %bb.14:
	ds_read_b128 v[128:131], v44
	ds_read_b128 v[132:135], v44 offset:480
	ds_read_b128 v[144:147], v44 offset:960
	;; [unrolled: 1-line block ×16, first 2 shown]
.LBB0_15:
	s_or_b64 exec, exec, s[2:3]
	s_mov_b32 s16, 0x2a9d6da3
	s_waitcnt lgkmcnt(0)
	v_add_f64 v[240:241], v[134:135], -v[28:29]
	s_mov_b32 s17, 0xbfe58eea
	s_mov_b32 s2, 0x75d4884
	v_mul_f64 v[0:1], v[240:241], s[16:17]
	s_mov_b32 s24, 0xeb564b22
	v_add_f64 v[234:235], v[132:133], v[26:27]
	v_add_f64 v[236:237], v[134:135], v[28:29]
	s_mov_b32 s3, 0x3fe7a5f6
	v_accvgpr_write_b32 a83, v1
	s_mov_b32 s20, 0x7c9e640b
	v_add_f64 v[248:249], v[146:147], -v[118:119]
	s_mov_b32 s14, 0x3259b75e
	s_mov_b32 s25, 0xbfefdd0d
	v_add_f64 v[244:245], v[132:133], -v[26:27]
	v_mul_f64 v[22:23], v[236:237], s[2:3]
	v_accvgpr_write_b32 a82, v0
	v_fma_f64 v[0:1], v[234:235], s[2:3], -v[0:1]
	s_mov_b32 s10, 0x2b2883cd
	s_mov_b32 s21, 0xbfeca52d
	v_add_f64 v[238:239], v[144:145], v[116:117]
	v_add_f64 v[242:243], v[146:147], v[118:119]
	s_mov_b32 s15, 0x3fb79ee6
	v_mul_f64 v[24:25], v[248:249], s[24:25]
	s_mov_b32 s28, 0x6c9a05f6
	v_add_f64 v[0:1], v[128:129], v[0:1]
	v_fma_f64 v[2:3], s[16:17], v[244:245], v[22:23]
	s_mov_b32 s11, 0x3fdc86fa
	v_mul_f64 v[56:57], v[240:241], s[20:21]
	v_add_f64 v[188:189], v[144:145], -v[116:117]
	v_mul_f64 v[30:31], v[242:243], s[14:15]
	v_fma_f64 v[8:9], v[238:239], s[14:15], -v[24:25]
	s_mov_b32 s18, 0x6ed5f1bb
	s_mov_b32 s29, 0xbfe9895b
	v_add_f64 v[2:3], v[130:131], v[2:3]
	v_mul_f64 v[52:53], v[236:237], s[10:11]
	v_fma_f64 v[4:5], v[234:235], s[10:11], -v[56:57]
	v_add_f64 v[0:1], v[8:9], v[0:1]
	v_fma_f64 v[8:9], s[24:25], v[188:189], v[30:31]
	s_mov_b32 s19, 0xbfe348c8
	v_mul_f64 v[54:55], v[248:249], s[28:29]
	v_add_f64 v[4:5], v[128:129], v[4:5]
	v_fma_f64 v[6:7], s[20:21], v[244:245], v[52:53]
	v_add_f64 v[2:3], v[8:9], v[2:3]
	v_mul_f64 v[10:11], v[242:243], s[18:19]
	v_fma_f64 v[8:9], v[238:239], s[18:19], -v[54:55]
	v_add_f64 v[190:191], v[122:123], -v[174:175]
	v_add_f64 v[6:7], v[130:131], v[6:7]
	v_add_f64 v[4:5], v[8:9], v[4:5]
	v_fma_f64 v[8:9], s[28:29], v[188:189], v[10:11]
	v_add_f64 v[246:247], v[120:121], v[172:173]
	v_add_f64 v[250:251], v[122:123], v[174:175]
	v_mul_f64 v[32:33], v[190:191], s[28:29]
	v_add_f64 v[6:7], v[8:9], v[6:7]
	v_add_f64 v[198:199], v[120:121], -v[172:173]
	v_mul_f64 v[34:35], v[250:251], s[18:19]
	v_fma_f64 v[8:9], v[246:247], s[18:19], -v[32:33]
	s_mov_b32 s48, 0xacd6c6b4
	v_add_f64 v[0:1], v[8:9], v[0:1]
	v_fma_f64 v[8:9], s[28:29], v[198:199], v[34:35]
	s_mov_b32 s49, 0x3fc7851a
	v_add_f64 v[2:3], v[8:9], v[2:3]
	s_mov_b32 s26, 0x7faef3
	v_mul_f64 v[8:9], v[190:191], s[48:49]
	v_accvgpr_write_b32 a77, v11
	s_mov_b32 s27, 0xbfef7484
	v_accvgpr_write_b32 a75, v9
	v_accvgpr_write_b32 a76, v10
	v_mul_f64 v[10:11], v[250:251], s[26:27]
	v_accvgpr_write_b32 a74, v8
	v_fma_f64 v[8:9], v[246:247], s[26:27], -v[8:9]
	v_add_f64 v[194:195], v[138:139], -v[142:143]
	s_mov_b32 s36, s48
	v_add_f64 v[4:5], v[8:9], v[4:5]
	v_fma_f64 v[8:9], s[48:49], v[198:199], v[10:11]
	v_add_f64 v[252:253], v[136:137], v[140:141]
	v_add_f64 v[192:193], v[138:139], v[142:143]
	v_mul_f64 v[46:47], v[194:195], s[36:37]
	v_add_f64 v[6:7], v[8:9], v[6:7]
	v_add_f64 v[202:203], v[136:137], -v[140:141]
	v_mul_f64 v[48:49], v[192:193], s[26:27]
	v_fma_f64 v[8:9], v[252:253], s[26:27], -v[46:47]
	s_mov_b32 s42, 0x923c349f
	v_add_f64 v[0:1], v[8:9], v[0:1]
	v_fma_f64 v[8:9], s[36:37], v[202:203], v[48:49]
	s_mov_b32 s43, 0x3feec746
	v_add_f64 v[2:3], v[8:9], v[2:3]
	s_mov_b32 s30, 0xc61f0d01
	v_mul_f64 v[8:9], v[194:195], s[42:43]
	v_accvgpr_write_b32 a87, v11
	s_mov_b32 s31, 0xbfd183b1
	v_accvgpr_write_b32 a85, v9
	s_mov_b32 s34, 0x910ea3b9
	s_mov_b32 s46, 0x4363dd80
	v_accvgpr_write_b32 a86, v10
	v_mul_f64 v[10:11], v[192:193], s[30:31]
	v_accvgpr_write_b32 a84, v8
	v_fma_f64 v[8:9], v[252:253], s[30:31], -v[8:9]
	v_add_f64 v[196:197], v[150:151], v[178:179]
	v_add_f64 v[204:205], v[150:151], -v[178:179]
	s_mov_b32 s35, 0xbfeb34fa
	s_mov_b32 s47, 0x3fe0d888
	v_add_f64 v[4:5], v[8:9], v[4:5]
	v_accvgpr_write_b32 a97, v11
	v_fma_f64 v[8:9], s[42:43], v[202:203], v[10:11]
	v_add_f64 v[254:255], v[148:149], v[176:177]
	v_mul_f64 v[50:51], v[204:205], s[46:47]
	v_mul_f64 v[12:13], v[196:197], s[34:35]
	v_accvgpr_write_b32 a96, v10
	v_add_f64 v[8:9], v[8:9], v[6:7]
	v_add_f64 v[6:7], v[148:149], -v[176:177]
	v_fma_f64 v[10:11], v[254:255], s[34:35], -v[50:51]
	v_accvgpr_write_b32 a73, v13
	s_mov_b32 s57, 0x3fe58eea
	s_mov_b32 s56, s16
	v_add_f64 v[10:11], v[10:11], v[0:1]
	v_accvgpr_write_b32 a72, v12
	v_fma_f64 v[0:1], s[46:47], v[6:7], v[12:13]
	v_mul_f64 v[58:59], v[204:205], s[56:57]
	v_mul_f64 v[12:13], v[196:197], s[2:3]
	v_add_f64 v[2:3], v[0:1], v[2:3]
	v_fma_f64 v[0:1], v[254:255], s[2:3], -v[58:59]
	v_accvgpr_write_b32 a105, v13
	v_add_f64 v[228:229], v[154:155], -v[170:171]
	v_add_f64 v[4:5], v[0:1], v[4:5]
	v_accvgpr_write_b32 a104, v12
	v_fma_f64 v[0:1], s[56:57], v[6:7], v[12:13]
	v_mul_f64 v[12:13], v[228:229], s[42:43]
	v_add_f64 v[200:201], v[152:153], v[168:169]
	v_add_f64 v[206:207], v[154:155], v[170:171]
	v_accvgpr_write_b32 a79, v13
	v_add_f64 v[8:9], v[0:1], v[8:9]
	v_add_f64 v[0:1], v[152:153], -v[168:169]
	v_mul_f64 v[14:15], v[206:207], s[30:31]
	v_accvgpr_write_b32 a78, v12
	v_fma_f64 v[12:13], v[200:201], s[30:31], -v[12:13]
	s_mov_b32 s40, 0x5d8e7cdc
	v_add_f64 v[10:11], v[12:13], v[10:11]
	v_fma_f64 v[12:13], s[42:43], v[0:1], v[14:15]
	s_mov_b32 s41, 0xbfd71e95
	v_add_f64 v[12:13], v[12:13], v[2:3]
	s_mov_b32 s38, 0x370991
	v_mul_f64 v[2:3], v[228:229], s[40:41]
	s_mov_b32 s39, 0x3fedd6d0
	v_accvgpr_write_b32 a103, v3
	v_accvgpr_write_b32 a81, v15
	v_mul_f64 v[16:17], v[206:207], s[38:39]
	v_accvgpr_write_b32 a102, v2
	v_fma_f64 v[2:3], v[200:201], s[38:39], -v[2:3]
	v_accvgpr_write_b32 a80, v14
	v_add_f64 v[14:15], v[2:3], v[4:5]
	v_fma_f64 v[2:3], s[40:41], v[0:1], v[16:17]
	v_accvgpr_write_b32 a119, v17
	v_add_f64 v[8:9], v[2:3], v[8:9]
	v_add_f64 v[2:3], v[162:163], -v[166:167]
	s_mov_b32 s51, 0x3feca52d
	s_mov_b32 s50, s20
	v_accvgpr_write_b32 a118, v16
	v_mul_f64 v[16:17], v[2:3], s[50:51]
	v_add_f64 v[4:5], v[160:161], v[164:165]
	v_add_f64 v[208:209], v[162:163], v[166:167]
	v_accvgpr_write_b32 a93, v17
	v_add_f64 v[214:215], v[160:161], -v[164:165]
	v_mul_f64 v[18:19], v[208:209], s[10:11]
	v_accvgpr_write_b32 a92, v16
	v_fma_f64 v[16:17], v[4:5], s[10:11], -v[16:17]
	v_add_f64 v[10:11], v[16:17], v[10:11]
	v_fma_f64 v[16:17], s[50:51], v[214:215], v[18:19]
	v_accvgpr_write_b32 a91, v19
	v_add_f64 v[12:13], v[16:17], v[12:13]
	v_mul_f64 v[16:17], v[2:3], s[24:25]
	v_accvgpr_write_b32 a90, v18
	v_mul_f64 v[18:19], v[208:209], s[14:15]
	v_accvgpr_write_b32 a107, v17
	v_accvgpr_write_b32 a106, v16
	v_fma_f64 v[16:17], v[4:5], s[14:15], -v[16:17]
	v_accvgpr_write_b32 a125, v19
	v_add_f64 v[212:213], v[126:127], -v[158:159]
	s_mov_b32 s55, 0x3fd71e95
	s_mov_b32 s54, s40
	v_add_f64 v[14:15], v[16:17], v[14:15]
	v_accvgpr_write_b32 a124, v18
	v_fma_f64 v[16:17], s[24:25], v[214:215], v[18:19]
	v_mul_f64 v[18:19], v[212:213], s[54:55]
	v_add_f64 v[210:211], v[124:125], v[156:157]
	v_add_f64 v[232:233], v[126:127], v[158:159]
	v_accvgpr_write_b32 a89, v19
	v_add_f64 v[16:17], v[16:17], v[8:9]
	v_add_f64 v[8:9], v[124:125], -v[156:157]
	v_mul_f64 v[180:181], v[232:233], s[38:39]
	v_accvgpr_write_b32 a88, v18
	v_fma_f64 v[18:19], v[210:211], s[38:39], -v[18:19]
	v_add_f64 v[184:185], v[18:19], v[10:11]
	v_fma_f64 v[10:11], s[54:55], v[8:9], v[180:181]
	s_mov_b32 s45, 0xbfe0d888
	s_mov_b32 s44, s46
	v_add_f64 v[186:187], v[10:11], v[12:13]
	v_mul_f64 v[10:11], v[212:213], s[44:45]
	v_accvgpr_write_b32 a94, v180
	v_mul_f64 v[18:19], v[232:233], s[34:35]
	v_fma_f64 v[12:13], v[210:211], s[34:35], -v[10:11]
	v_accvgpr_write_b32 a95, v181
	v_add_f64 v[180:181], v[12:13], v[14:15]
	v_fma_f64 v[12:13], s[44:45], v[8:9], v[18:19]
	v_add_f64 v[182:183], v[12:13], v[16:17]
	s_barrier
	s_and_saveexec_b64 s[22:23], vcc
	s_cbranch_execz .LBB0_17
; %bb.16:
	v_accvgpr_write_b32 a121, v31
	v_accvgpr_write_b32 a133, v11
	;; [unrolled: 1-line block ×3, first 2 shown]
	v_mul_f64 v[30:31], v[244:245], s[36:37]
	v_accvgpr_write_b32 a111, v33
	v_accvgpr_write_b32 a67, v29
	;; [unrolled: 1-line block ×3, first 2 shown]
	v_mul_f64 v[10:11], v[188:189], s[54:55]
	v_accvgpr_write_b32 a110, v32
	v_fma_f64 v[32:33], s[26:27], v[236:237], v[30:31]
	v_accvgpr_write_b32 a66, v28
	v_accvgpr_write_b32 a65, v27
	;; [unrolled: 1-line block ×4, first 2 shown]
	v_mul_f64 v[26:27], v[198:199], s[44:45]
	v_accvgpr_write_b32 a109, v47
	v_fma_f64 v[28:29], s[38:39], v[242:243], v[10:11]
	v_add_f64 v[32:33], v[130:131], v[32:33]
	v_accvgpr_write_b32 a4, v218
	v_accvgpr_write_b32 a9, v223
	;; [unrolled: 1-line block ×4, first 2 shown]
	v_mul_f64 v[224:225], v[202:203], s[56:57]
	v_accvgpr_write_b32 a108, v46
	v_fma_f64 v[46:47], s[34:35], v[250:251], v[26:27]
	v_add_f64 v[28:29], v[28:29], v[32:33]
	v_accvgpr_write_b32 a123, v25
	v_accvgpr_write_b32 a5, v219
	;; [unrolled: 1-line block ×4, first 2 shown]
	v_mul_f64 v[220:221], v[6:7], s[28:29]
	v_accvgpr_write_b32 a36, v226
	v_accvgpr_write_b32 a37, v227
	v_fma_f64 v[226:227], s[2:3], v[192:193], v[224:225]
	v_add_f64 v[28:29], v[46:47], v[28:29]
	v_accvgpr_write_b32 a122, v24
	v_mul_f64 v[24:25], v[240:241], s[36:37]
	v_accvgpr_write_b32 a131, v49
	v_accvgpr_write_b32 a1, v216
	v_accvgpr_write_b32 a3, v217
	v_mul_f64 v[216:217], v[0:1], s[50:51]
	v_fma_f64 v[222:223], s[18:19], v[196:197], v[220:221]
	v_add_f64 v[28:29], v[226:227], v[28:29]
	v_mul_f64 v[226:227], v[248:249], s[54:55]
	v_accvgpr_write_b32 a129, v23
	v_accvgpr_write_b32 a130, v48
	v_fma_f64 v[48:49], v[234:235], s[26:27], -v[24:25]
	v_fma_f64 v[218:219], s[10:11], v[206:207], v[216:217]
	v_add_f64 v[28:29], v[222:223], v[28:29]
	v_mul_f64 v[222:223], v[190:191], s[44:45]
	v_accvgpr_write_b32 a128, v22
	v_fma_f64 v[22:23], v[238:239], s[38:39], -v[226:227]
	v_add_f64 v[48:49], v[128:129], v[48:49]
	s_mov_b32 s53, 0xbfeec746
	s_mov_b32 s52, s42
	v_add_f64 v[28:29], v[218:219], v[28:29]
	v_mul_f64 v[218:219], v[194:195], s[56:57]
	v_add_f64 v[22:23], v[22:23], v[48:49]
	v_fma_f64 v[48:49], v[246:247], s[34:35], -v[222:223]
	s_mov_b32 s61, 0x3fefdd0d
	s_mov_b32 s60, s24
	v_mul_f64 v[16:17], v[214:215], s[52:53]
	v_accvgpr_write_b32 a139, v19
	v_accvgpr_write_b32 a127, v35
	v_mul_f64 v[46:47], v[204:205], s[28:29]
	v_add_f64 v[22:23], v[48:49], v[22:23]
	v_fma_f64 v[48:49], v[252:253], s[2:3], -v[218:219]
	v_mul_f64 v[12:13], v[8:9], s[60:61]
	v_accvgpr_write_b32 a138, v18
	v_fma_f64 v[18:19], s[30:31], v[208:209], v[16:17]
	v_accvgpr_write_b32 a126, v34
	v_mul_f64 v[34:35], v[228:229], s[50:51]
	v_add_f64 v[22:23], v[48:49], v[22:23]
	v_fma_f64 v[48:49], v[254:255], s[18:19], -v[46:47]
	v_fma_f64 v[30:31], v[236:237], s[26:27], -v[30:31]
	v_fma_f64 v[14:15], s[14:15], v[232:233], v[12:13]
	v_add_f64 v[18:19], v[18:19], v[28:29]
	v_accvgpr_write_b32 a117, v51
	v_mul_f64 v[28:29], v[2:3], s[52:53]
	v_add_f64 v[22:23], v[48:49], v[22:23]
	v_fma_f64 v[48:49], v[200:201], s[10:11], -v[34:35]
	v_fma_f64 v[10:11], v[242:243], s[38:39], -v[10:11]
	v_add_f64 v[30:31], v[130:131], v[30:31]
	v_accvgpr_write_b32 a116, v50
	v_add_f64 v[50:51], v[14:15], v[18:19]
	v_mul_f64 v[14:15], v[212:213], s[60:61]
	v_fma_f64 v[32:33], v[4:5], s[30:31], -v[28:29]
	v_add_f64 v[22:23], v[48:49], v[22:23]
	v_fma_f64 v[26:27], v[250:251], s[34:35], -v[26:27]
	v_add_f64 v[10:11], v[10:11], v[30:31]
	v_fma_f64 v[18:19], v[210:211], s[14:15], -v[14:15]
	v_add_f64 v[22:23], v[32:33], v[22:23]
	v_fma_f64 v[32:33], v[192:193], s[2:3], -v[224:225]
	v_add_f64 v[10:11], v[26:27], v[10:11]
	v_add_f64 v[48:49], v[18:19], v[22:23]
	v_fma_f64 v[22:23], v[196:197], s[18:19], -v[220:221]
	v_add_f64 v[10:11], v[32:33], v[10:11]
	v_fma_f64 v[18:19], v[206:207], s[10:11], -v[216:217]
	;; [unrolled: 2-line block ×4, first 2 shown]
	v_add_f64 v[10:11], v[16:17], v[10:11]
	v_fmac_f64_e32 v[24:25], s[26:27], v[234:235]
	v_add_f64 v[12:13], v[12:13], v[10:11]
	v_fmac_f64_e32 v[226:227], s[38:39], v[238:239]
	;; [unrolled: 2-line block ×4, first 2 shown]
	v_add_f64 v[10:11], v[222:223], v[10:11]
	v_accvgpr_write_b32 a63, v51
	v_fmac_f64_e32 v[46:47], s[18:19], v[254:255]
	v_add_f64 v[10:11], v[218:219], v[10:11]
	v_accvgpr_write_b32 a62, v50
	v_accvgpr_write_b32 a61, v49
	;; [unrolled: 1-line block ×3, first 2 shown]
	v_fmac_f64_e32 v[34:35], s[10:11], v[200:201]
	v_add_f64 v[10:11], v[46:47], v[10:11]
	v_mul_f64 v[48:49], v[244:245], s[44:45]
	v_add_f64 v[10:11], v[34:35], v[10:11]
	v_mul_f64 v[34:35], v[188:189], s[50:51]
	v_fma_f64 v[50:51], s[34:35], v[236:237], v[48:49]
	s_mov_b32 s59, 0x3fe9895b
	s_mov_b32 s58, s28
	v_mul_f64 v[30:31], v[198:199], s[24:25]
	v_fma_f64 v[46:47], s[10:11], v[242:243], v[34:35]
	v_add_f64 v[50:51], v[130:131], v[50:51]
	v_mul_f64 v[218:219], v[240:241], s[44:45]
	v_fmac_f64_e32 v[28:29], s[30:31], v[4:5]
	v_mul_f64 v[26:27], v[202:203], s[58:59]
	v_fma_f64 v[32:33], s[14:15], v[250:251], v[30:31]
	v_add_f64 v[46:47], v[46:47], v[50:51]
	v_mul_f64 v[50:51], v[248:249], s[50:51]
	v_fma_f64 v[220:221], v[234:235], s[34:35], -v[218:219]
	v_fma_f64 v[48:49], v[236:237], s[34:35], -v[48:49]
	v_fmac_f64_e32 v[14:15], s[14:15], v[210:211]
	v_add_f64 v[10:11], v[28:29], v[10:11]
	v_mul_f64 v[22:23], v[6:7], s[40:41]
	v_fma_f64 v[28:29], s[18:19], v[192:193], v[26:27]
	v_add_f64 v[32:33], v[32:33], v[46:47]
	v_mul_f64 v[46:47], v[190:191], s[24:25]
	v_fma_f64 v[216:217], v[238:239], s[10:11], -v[50:51]
	v_add_f64 v[220:221], v[128:129], v[220:221]
	v_fma_f64 v[34:35], v[242:243], s[10:11], -v[34:35]
	v_add_f64 v[48:49], v[130:131], v[48:49]
	v_add_f64 v[10:11], v[14:15], v[10:11]
	v_accvgpr_write_b32 a71, v13
	v_mul_f64 v[16:17], v[0:1], s[36:37]
	v_fma_f64 v[24:25], s[38:39], v[196:197], v[22:23]
	v_add_f64 v[28:29], v[28:29], v[32:33]
	v_mul_f64 v[32:33], v[194:195], s[58:59]
	v_add_f64 v[216:217], v[216:217], v[220:221]
	v_fma_f64 v[220:221], v[246:247], s[14:15], -v[46:47]
	v_fma_f64 v[30:31], v[250:251], s[14:15], -v[30:31]
	v_add_f64 v[34:35], v[34:35], v[48:49]
	v_accvgpr_write_b32 a70, v12
	v_accvgpr_write_b32 a69, v11
	;; [unrolled: 1-line block ×3, first 2 shown]
	v_mul_f64 v[12:13], v[214:215], s[56:57]
	v_fma_f64 v[18:19], s[26:27], v[206:207], v[16:17]
	v_add_f64 v[24:25], v[24:25], v[28:29]
	v_mul_f64 v[28:29], v[204:205], s[40:41]
	v_add_f64 v[216:217], v[220:221], v[216:217]
	v_fma_f64 v[220:221], v[252:253], s[18:19], -v[32:33]
	v_fma_f64 v[26:27], v[192:193], s[18:19], -v[26:27]
	v_add_f64 v[30:31], v[30:31], v[34:35]
	v_fma_f64 v[14:15], s[2:3], v[208:209], v[12:13]
	v_add_f64 v[18:19], v[18:19], v[24:25]
	v_mul_f64 v[24:25], v[228:229], s[36:37]
	v_add_f64 v[216:217], v[220:221], v[216:217]
	v_fma_f64 v[220:221], v[254:255], s[38:39], -v[28:29]
	v_fma_f64 v[22:23], v[196:197], s[38:39], -v[22:23]
	v_add_f64 v[26:27], v[26:27], v[30:31]
	v_add_f64 v[14:15], v[14:15], v[18:19]
	v_mul_f64 v[18:19], v[2:3], s[56:57]
	v_add_f64 v[216:217], v[220:221], v[216:217]
	v_fma_f64 v[220:221], v[200:201], s[26:27], -v[24:25]
	v_fma_f64 v[16:17], v[206:207], s[26:27], -v[16:17]
	v_add_f64 v[22:23], v[22:23], v[26:27]
	v_mul_f64 v[10:11], v[8:9], s[52:53]
	v_add_f64 v[216:217], v[220:221], v[216:217]
	v_fma_f64 v[220:221], v[4:5], s[2:3], -v[18:19]
	v_fma_f64 v[12:13], v[208:209], s[2:3], -v[12:13]
	v_add_f64 v[16:17], v[16:17], v[22:23]
	v_add_f64 v[216:217], v[220:221], v[216:217]
	v_fma_f64 v[220:221], s[30:31], v[232:233], v[10:11]
	v_fma_f64 v[10:11], v[232:233], s[30:31], -v[10:11]
	v_add_f64 v[12:13], v[12:13], v[16:17]
	v_fmac_f64_e32 v[218:219], s[34:35], v[234:235]
	v_add_f64 v[12:13], v[10:11], v[12:13]
	v_fmac_f64_e32 v[50:51], s[10:11], v[238:239]
	;; [unrolled: 2-line block ×4, first 2 shown]
	v_add_f64 v[10:11], v[46:47], v[10:11]
	v_mul_f64 v[46:47], v[244:245], s[28:29]
	v_fmac_f64_e32 v[28:29], s[38:39], v[254:255]
	v_add_f64 v[10:11], v[32:33], v[10:11]
	v_mul_f64 v[32:33], v[188:189], s[42:43]
	v_fma_f64 v[48:49], s[18:19], v[236:237], v[46:47]
	v_fmac_f64_e32 v[24:25], s[26:27], v[200:201]
	v_add_f64 v[10:11], v[28:29], v[10:11]
	v_mul_f64 v[28:29], v[198:199], s[40:41]
	v_fma_f64 v[34:35], s[30:31], v[242:243], v[32:33]
	v_add_f64 v[48:49], v[130:131], v[48:49]
	v_add_f64 v[222:223], v[220:221], v[14:15]
	v_mul_f64 v[14:15], v[212:213], s[52:53]
	v_fmac_f64_e32 v[18:19], s[2:3], v[4:5]
	v_add_f64 v[10:11], v[24:25], v[10:11]
	v_mul_f64 v[24:25], v[202:203], s[44:45]
	v_fma_f64 v[30:31], s[38:39], v[250:251], v[28:29]
	v_add_f64 v[34:35], v[34:35], v[48:49]
	v_fma_f64 v[220:221], v[210:211], s[30:31], -v[14:15]
	v_fmac_f64_e32 v[14:15], s[30:31], v[210:211]
	v_add_f64 v[10:11], v[18:19], v[10:11]
	v_mul_f64 v[18:19], v[6:7], s[60:61]
	v_fma_f64 v[26:27], s[34:35], v[192:193], v[24:25]
	v_add_f64 v[30:31], v[30:31], v[34:35]
	v_add_f64 v[10:11], v[14:15], v[10:11]
	v_accvgpr_write_b32 a115, v13
	v_mul_f64 v[14:15], v[0:1], s[16:17]
	v_fma_f64 v[22:23], s[14:15], v[196:197], v[18:19]
	v_add_f64 v[26:27], v[26:27], v[30:31]
	v_mul_f64 v[34:35], v[240:241], s[28:29]
	v_accvgpr_write_b32 a114, v12
	v_accvgpr_write_b32 a113, v11
	;; [unrolled: 1-line block ×3, first 2 shown]
	v_mul_f64 v[10:11], v[214:215], s[36:37]
	v_fma_f64 v[16:17], s[2:3], v[206:207], v[14:15]
	v_add_f64 v[22:23], v[22:23], v[26:27]
	v_mul_f64 v[26:27], v[248:249], s[42:43]
	v_fma_f64 v[48:49], v[234:235], s[18:19], -v[34:35]
	v_fma_f64 v[12:13], s[26:27], v[208:209], v[10:11]
	v_add_f64 v[16:17], v[16:17], v[22:23]
	v_mul_f64 v[22:23], v[190:191], s[40:41]
	v_fma_f64 v[30:31], v[238:239], s[30:31], -v[26:27]
	v_add_f64 v[48:49], v[128:129], v[48:49]
	v_add_f64 v[12:13], v[12:13], v[16:17]
	v_mul_f64 v[16:17], v[194:195], s[44:45]
	v_add_f64 v[30:31], v[30:31], v[48:49]
	v_fma_f64 v[48:49], v[246:247], s[38:39], -v[22:23]
	v_add_f64 v[30:31], v[48:49], v[30:31]
	v_fma_f64 v[48:49], v[252:253], s[34:35], -v[16:17]
	v_add_f64 v[30:31], v[48:49], v[30:31]
	v_mul_f64 v[48:49], v[204:205], s[60:61]
	v_fma_f64 v[50:51], v[254:255], s[14:15], -v[48:49]
	v_add_f64 v[30:31], v[50:51], v[30:31]
	v_mul_f64 v[50:51], v[228:229], s[16:17]
	v_add_f64 v[220:221], v[220:221], v[216:217]
	v_fma_f64 v[216:217], v[200:201], s[2:3], -v[50:51]
	v_add_f64 v[30:31], v[216:217], v[30:31]
	v_mul_f64 v[216:217], v[2:3], s[36:37]
	v_fma_f64 v[218:219], v[4:5], s[26:27], -v[216:217]
	v_accvgpr_write_b32 a98, v220
	v_add_f64 v[30:31], v[218:219], v[30:31]
	v_mul_f64 v[218:219], v[8:9], s[50:51]
	v_accvgpr_write_b32 a99, v221
	v_accvgpr_write_b32 a100, v222
	;; [unrolled: 1-line block ×3, first 2 shown]
	v_fma_f64 v[220:221], s[10:11], v[232:233], v[218:219]
	v_add_f64 v[222:223], v[220:221], v[12:13]
	v_mul_f64 v[12:13], v[212:213], s[50:51]
	v_fma_f64 v[220:221], v[210:211], s[10:11], -v[12:13]
	v_add_f64 v[220:221], v[220:221], v[30:31]
	v_fma_f64 v[30:31], v[242:243], s[30:31], -v[32:33]
	v_fma_f64 v[32:33], v[236:237], s[18:19], -v[46:47]
	v_add_f64 v[32:33], v[130:131], v[32:33]
	v_add_f64 v[30:31], v[30:31], v[32:33]
	v_fma_f64 v[28:29], v[250:251], s[38:39], -v[28:29]
	v_add_f64 v[28:29], v[28:29], v[30:31]
	v_fma_f64 v[24:25], v[192:193], s[34:35], -v[24:25]
	v_add_f64 v[24:25], v[24:25], v[28:29]
	v_fma_f64 v[18:19], v[196:197], s[14:15], -v[18:19]
	v_add_f64 v[18:19], v[18:19], v[24:25]
	v_fma_f64 v[14:15], v[206:207], s[2:3], -v[14:15]
	v_fma_f64 v[10:11], v[208:209], s[26:27], -v[10:11]
	v_add_f64 v[14:15], v[14:15], v[18:19]
	v_fma_f64 v[24:25], v[232:233], s[10:11], -v[218:219]
	v_add_f64 v[10:11], v[10:11], v[14:15]
	v_fmac_f64_e32 v[34:35], s[18:19], v[234:235]
	v_add_f64 v[14:15], v[24:25], v[10:11]
	v_fmac_f64_e32 v[26:27], s[30:31], v[238:239]
	;; [unrolled: 2-line block ×5, first 2 shown]
	v_add_f64 v[10:11], v[16:17], v[10:11]
	v_mul_f64 v[28:29], v[244:245], s[52:53]
	v_fmac_f64_e32 v[50:51], s[2:3], v[200:201]
	v_add_f64 v[10:11], v[48:49], v[10:11]
	v_mul_f64 v[24:25], v[188:189], s[46:47]
	v_fma_f64 v[30:31], s[30:31], v[236:237], v[28:29]
	v_fmac_f64_e32 v[216:217], s[26:27], v[4:5]
	v_add_f64 v[10:11], v[50:51], v[10:11]
	v_mul_f64 v[22:23], v[198:199], s[56:57]
	v_fma_f64 v[26:27], s[34:35], v[242:243], v[24:25]
	v_add_f64 v[30:31], v[130:131], v[30:31]
	v_fmac_f64_e32 v[12:13], s[10:11], v[210:211]
	v_add_f64 v[10:11], v[216:217], v[10:11]
	v_mul_f64 v[18:19], v[202:203], s[20:21]
	v_add_f64 v[26:27], v[26:27], v[30:31]
	v_fma_f64 v[30:31], s[2:3], v[250:251], v[22:23]
	v_add_f64 v[12:13], v[12:13], v[10:11]
	v_accvgpr_write_b32 a143, v15
	v_mul_f64 v[16:17], v[6:7], s[36:37]
	v_add_f64 v[26:27], v[30:31], v[26:27]
	v_fma_f64 v[30:31], s[10:11], v[192:193], v[18:19]
	v_accvgpr_write_b32 a142, v14
	v_accvgpr_write_b32 a141, v13
	;; [unrolled: 1-line block ×3, first 2 shown]
	v_mul_f64 v[14:15], v[0:1], s[60:61]
	v_add_f64 v[26:27], v[30:31], v[26:27]
	v_fma_f64 v[30:31], s[26:27], v[196:197], v[16:17]
	v_mul_f64 v[10:11], v[214:215], s[40:41]
	v_add_f64 v[26:27], v[30:31], v[26:27]
	v_fma_f64 v[30:31], s[14:15], v[206:207], v[14:15]
	v_fma_f64 v[12:13], s[38:39], v[208:209], v[10:11]
	v_add_f64 v[26:27], v[30:31], v[26:27]
	v_add_f64 v[12:13], v[12:13], v[26:27]
	v_mul_f64 v[26:27], v[240:241], s[52:53]
	v_fma_f64 v[30:31], v[234:235], s[30:31], -v[26:27]
	v_mul_f64 v[32:33], v[248:249], s[46:47]
	v_add_f64 v[30:31], v[128:129], v[30:31]
	v_fma_f64 v[34:35], v[238:239], s[34:35], -v[32:33]
	v_add_f64 v[30:31], v[34:35], v[30:31]
	v_mul_f64 v[34:35], v[190:191], s[56:57]
	v_fma_f64 v[46:47], v[246:247], s[2:3], -v[34:35]
	v_add_f64 v[30:31], v[46:47], v[30:31]
	v_mul_f64 v[46:47], v[194:195], s[20:21]
	v_fma_f64 v[28:29], v[236:237], s[30:31], -v[28:29]
	v_fma_f64 v[48:49], v[252:253], s[10:11], -v[46:47]
	;; [unrolled: 1-line block ×3, first 2 shown]
	v_add_f64 v[28:29], v[130:131], v[28:29]
	v_add_f64 v[30:31], v[48:49], v[30:31]
	v_mul_f64 v[48:49], v[204:205], s[36:37]
	v_add_f64 v[24:25], v[24:25], v[28:29]
	v_fma_f64 v[22:23], v[250:251], s[2:3], -v[22:23]
	v_fma_f64 v[50:51], v[254:255], s[26:27], -v[48:49]
	v_add_f64 v[22:23], v[22:23], v[24:25]
	v_fma_f64 v[18:19], v[192:193], s[10:11], -v[18:19]
	v_add_f64 v[30:31], v[50:51], v[30:31]
	v_mul_f64 v[50:51], v[228:229], s[60:61]
	v_add_f64 v[18:19], v[18:19], v[22:23]
	v_fma_f64 v[16:17], v[196:197], s[26:27], -v[16:17]
	v_fma_f64 v[216:217], v[200:201], s[14:15], -v[50:51]
	v_add_f64 v[16:17], v[16:17], v[18:19]
	v_fma_f64 v[14:15], v[206:207], s[14:15], -v[14:15]
	v_add_f64 v[30:31], v[216:217], v[30:31]
	v_mul_f64 v[216:217], v[2:3], s[40:41]
	v_add_f64 v[14:15], v[14:15], v[16:17]
	v_fma_f64 v[10:11], v[208:209], s[38:39], -v[10:11]
	v_fmac_f64_e32 v[26:27], s[30:31], v[234:235]
	v_fma_f64 v[218:219], v[4:5], s[38:39], -v[216:217]
	v_add_f64 v[10:11], v[10:11], v[14:15]
	v_fmac_f64_e32 v[32:33], s[34:35], v[238:239]
	v_add_f64 v[14:15], v[128:129], v[26:27]
	v_add_f64 v[30:31], v[218:219], v[30:31]
	v_mul_f64 v[218:219], v[8:9], s[28:29]
	v_add_f64 v[14:15], v[32:33], v[14:15]
	v_fmac_f64_e32 v[34:35], s[2:3], v[246:247]
	v_accvgpr_write_b32 a134, v220
	v_add_f64 v[14:15], v[34:35], v[14:15]
	v_fma_f64 v[16:17], v[232:233], s[18:19], -v[218:219]
	v_fmac_f64_e32 v[46:47], s[10:11], v[252:253]
	v_accvgpr_write_b32 a135, v221
	v_accvgpr_write_b32 a136, v222
	;; [unrolled: 1-line block ×3, first 2 shown]
	v_fma_f64 v[220:221], s[18:19], v[232:233], v[218:219]
	v_add_f64 v[218:219], v[16:17], v[10:11]
	v_fmac_f64_e32 v[48:49], s[26:27], v[254:255]
	v_add_f64 v[10:11], v[46:47], v[14:15]
	v_fmac_f64_e32 v[50:51], s[14:15], v[200:201]
	v_add_f64 v[10:11], v[48:49], v[10:11]
	v_add_f64 v[222:223], v[220:221], v[12:13]
	v_mul_f64 v[12:13], v[212:213], s[28:29]
	v_fmac_f64_e32 v[216:217], s[38:39], v[4:5]
	v_add_f64 v[10:11], v[50:51], v[10:11]
	v_mul_f64 v[18:19], v[244:245], s[24:25]
	v_fma_f64 v[220:221], v[210:211], s[18:19], -v[12:13]
	v_fmac_f64_e32 v[12:13], s[18:19], v[210:211]
	v_add_f64 v[10:11], v[216:217], v[10:11]
	v_mul_f64 v[14:15], v[188:189], s[36:37]
	v_fma_f64 v[22:23], s[14:15], v[236:237], v[18:19]
	v_add_f64 v[216:217], v[12:13], v[10:11]
	v_mul_f64 v[12:13], v[198:199], s[42:43]
	v_fma_f64 v[16:17], s[26:27], v[242:243], v[14:15]
	v_add_f64 v[22:23], v[130:131], v[22:23]
	v_mul_f64 v[10:11], v[202:203], s[54:55]
	v_add_f64 v[16:17], v[16:17], v[22:23]
	v_fma_f64 v[22:23], s[30:31], v[250:251], v[12:13]
	v_add_f64 v[16:17], v[22:23], v[16:17]
	v_fma_f64 v[22:23], s[38:39], v[192:193], v[10:11]
	v_add_f64 v[16:17], v[22:23], v[16:17]
	v_mul_f64 v[22:23], v[6:7], s[20:21]
	v_fma_f64 v[24:25], s[10:11], v[196:197], v[22:23]
	v_add_f64 v[16:17], v[24:25], v[16:17]
	v_mul_f64 v[24:25], v[0:1], s[44:45]
	;; [unrolled: 3-line block ×4, first 2 shown]
	v_add_f64 v[220:221], v[220:221], v[30:31]
	v_fma_f64 v[30:31], v[234:235], s[14:15], -v[28:29]
	v_mul_f64 v[32:33], v[248:249], s[36:37]
	v_fma_f64 v[18:19], v[236:237], s[14:15], -v[18:19]
	v_add_f64 v[30:31], v[128:129], v[30:31]
	v_fma_f64 v[34:35], v[238:239], s[26:27], -v[32:33]
	v_fma_f64 v[14:15], v[242:243], s[26:27], -v[14:15]
	v_add_f64 v[18:19], v[130:131], v[18:19]
	v_add_f64 v[30:31], v[34:35], v[30:31]
	v_mul_f64 v[34:35], v[190:191], s[42:43]
	v_add_f64 v[14:15], v[14:15], v[18:19]
	v_fma_f64 v[12:13], v[250:251], s[30:31], -v[12:13]
	v_fma_f64 v[46:47], v[246:247], s[30:31], -v[34:35]
	v_add_f64 v[12:13], v[12:13], v[14:15]
	v_fma_f64 v[10:11], v[192:193], s[38:39], -v[10:11]
	v_add_f64 v[30:31], v[46:47], v[30:31]
	v_mul_f64 v[46:47], v[194:195], s[54:55]
	v_add_f64 v[10:11], v[10:11], v[12:13]
	v_fma_f64 v[12:13], v[196:197], s[10:11], -v[22:23]
	v_fma_f64 v[48:49], v[252:253], s[38:39], -v[46:47]
	v_add_f64 v[10:11], v[12:13], v[10:11]
	v_fma_f64 v[12:13], v[206:207], s[34:35], -v[24:25]
	v_add_f64 v[30:31], v[48:49], v[30:31]
	v_mul_f64 v[48:49], v[204:205], s[20:21]
	v_add_f64 v[10:11], v[12:13], v[10:11]
	v_fma_f64 v[12:13], v[208:209], s[18:19], -v[26:27]
	v_fmac_f64_e32 v[28:29], s[14:15], v[234:235]
	v_fma_f64 v[50:51], v[254:255], s[10:11], -v[48:49]
	v_add_f64 v[10:11], v[12:13], v[10:11]
	v_fmac_f64_e32 v[32:33], s[26:27], v[238:239]
	v_add_f64 v[12:13], v[128:129], v[28:29]
	v_accvgpr_write_b32 a144, v220
	v_add_f64 v[30:31], v[50:51], v[30:31]
	v_mul_f64 v[50:51], v[228:229], s[44:45]
	v_add_f64 v[12:13], v[32:33], v[12:13]
	v_fmac_f64_e32 v[34:35], s[30:31], v[246:247]
	v_accvgpr_write_b32 a145, v221
	v_accvgpr_write_b32 a146, v222
	;; [unrolled: 1-line block ×3, first 2 shown]
	v_fma_f64 v[220:221], v[200:201], s[34:35], -v[50:51]
	v_mul_f64 v[224:225], v[2:3], s[58:59]
	v_add_f64 v[12:13], v[34:35], v[12:13]
	v_fmac_f64_e32 v[46:47], s[38:39], v[252:253]
	v_add_f64 v[30:31], v[220:221], v[30:31]
	v_fma_f64 v[220:221], v[4:5], s[18:19], -v[224:225]
	v_mul_f64 v[226:227], v[8:9], s[56:57]
	v_add_f64 v[12:13], v[46:47], v[12:13]
	v_fmac_f64_e32 v[48:49], s[10:11], v[254:255]
	v_add_f64 v[30:31], v[220:221], v[30:31]
	v_fma_f64 v[220:221], s[2:3], v[232:233], v[226:227]
	v_add_f64 v[12:13], v[48:49], v[12:13]
	v_fmac_f64_e32 v[50:51], s[34:35], v[200:201]
	v_add_f64 v[222:223], v[220:221], v[16:17]
	v_mul_f64 v[16:17], v[212:213], s[56:57]
	v_add_f64 v[12:13], v[50:51], v[12:13]
	v_fmac_f64_e32 v[224:225], s[18:19], v[4:5]
	v_fma_f64 v[220:221], v[210:211], s[2:3], -v[16:17]
	v_add_f64 v[12:13], v[224:225], v[12:13]
	v_fmac_f64_e32 v[16:17], s[2:3], v[210:211]
	v_fma_f64 v[14:15], v[232:233], s[2:3], -v[226:227]
	v_add_f64 v[224:225], v[16:17], v[12:13]
	v_accvgpr_read_b32 v12, a138
	v_add_f64 v[226:227], v[14:15], v[10:11]
	v_mul_f64 v[10:11], v[8:9], s[44:45]
	v_accvgpr_read_b32 v13, a139
	v_accvgpr_read_b32 v16, a124
	v_add_f64 v[10:11], v[12:13], -v[10:11]
	v_mul_f64 v[12:13], v[214:215], s[24:25]
	v_accvgpr_read_b32 v17, a125
	v_accvgpr_read_b32 v18, a118
	v_add_f64 v[12:13], v[16:17], -v[12:13]
	;; [unrolled: 4-line block ×6, first 2 shown]
	v_mul_f64 v[26:27], v[188:189], s[28:29]
	v_accvgpr_read_b32 v29, a77
	v_add_f64 v[26:27], v[28:29], -v[26:27]
	v_mul_f64 v[28:29], v[244:245], s[20:21]
	v_add_f64 v[28:29], v[52:53], -v[28:29]
	v_add_f64 v[28:29], v[130:131], v[28:29]
	v_add_f64 v[26:27], v[26:27], v[28:29]
	;; [unrolled: 1-line block ×5, first 2 shown]
	v_mul_f64 v[28:29], v[234:235], s[10:11]
	v_add_f64 v[16:17], v[16:17], v[18:19]
	v_accvgpr_read_b32 v32, a132
	v_accvgpr_read_b32 v50, a84
	v_mul_f64 v[22:23], v[238:239], s[18:19]
	v_add_f64 v[12:13], v[12:13], v[16:17]
	v_mul_f64 v[16:17], v[210:211], s[34:35]
	v_accvgpr_read_b32 v33, a133
	v_accvgpr_read_b32 v34, a106
	v_mul_f64 v[48:49], v[252:253], s[30:31]
	v_accvgpr_read_b32 v51, a85
	v_accvgpr_read_b32 v52, a74
	v_add_f64 v[28:29], v[28:29], v[56:57]
	v_add_f64 v[16:17], v[16:17], v[32:33]
	v_mul_f64 v[32:33], v[4:5], s[14:15]
	v_accvgpr_read_b32 v35, a107
	v_accvgpr_read_b32 v46, a102
	v_add_f64 v[48:49], v[48:49], v[50:51]
	v_mul_f64 v[50:51], v[246:247], s[26:27]
	v_accvgpr_read_b32 v53, a75
	v_add_f64 v[22:23], v[22:23], v[54:55]
	v_add_f64 v[28:29], v[128:129], v[28:29]
	;; [unrolled: 1-line block ×3, first 2 shown]
	v_mul_f64 v[34:35], v[200:201], s[38:39]
	v_accvgpr_read_b32 v47, a103
	v_add_f64 v[50:51], v[50:51], v[52:53]
	v_add_f64 v[22:23], v[22:23], v[28:29]
	;; [unrolled: 1-line block ×3, first 2 shown]
	v_mul_f64 v[46:47], v[254:255], s[2:3]
	v_add_f64 v[22:23], v[50:51], v[22:23]
	v_add_f64 v[46:47], v[46:47], v[58:59]
	;; [unrolled: 1-line block ×6, first 2 shown]
	v_accvgpr_read_b32 v58, a94
	v_add_f64 v[12:13], v[10:11], v[12:13]
	v_add_f64 v[10:11], v[16:17], v[22:23]
	v_mul_f64 v[16:17], v[8:9], s[54:55]
	v_accvgpr_read_b32 v59, a95
	v_add_f64 v[16:17], v[58:59], -v[16:17]
	v_accvgpr_read_b32 v58, a90
	v_mul_f64 v[32:33], v[214:215], s[50:51]
	v_accvgpr_read_b32 v59, a91
	v_add_f64 v[32:33], v[58:59], -v[32:33]
	v_accvgpr_read_b32 v58, a80
	;; [unrolled: 4-line block ×7, first 2 shown]
	v_add_f64 v[220:221], v[220:221], v[30:31]
	v_mul_f64 v[30:31], v[244:245], s[16:17]
	v_accvgpr_read_b32 v59, a129
	v_add_f64 v[30:31], v[58:59], -v[30:31]
	v_add_f64 v[30:31], v[130:131], v[30:31]
	v_add_f64 v[24:25], v[24:25], v[30:31]
	;; [unrolled: 1-line block ×6, first 2 shown]
	v_accvgpr_write_b32 a87, v67
	v_add_f64 v[24:25], v[32:33], v[24:25]
	v_accvgpr_write_b32 a86, v66
	v_accvgpr_write_b32 a85, v65
	;; [unrolled: 1-line block ×3, first 2 shown]
	v_accvgpr_read_b32 v64, a92
	v_add_f64 v[16:17], v[16:17], v[24:25]
	v_accvgpr_read_b32 v24, a88
	v_mul_f64 v[34:35], v[4:5], s[10:11]
	v_mul_f64 v[22:23], v[210:211], s[38:39]
	v_accvgpr_read_b32 v65, a93
	v_accvgpr_read_b32 v25, a89
	v_accvgpr_write_b32 a77, v63
	v_add_f64 v[22:23], v[22:23], v[24:25]
	v_add_f64 v[24:25], v[34:35], v[64:65]
	v_accvgpr_read_b32 v34, a110
	v_mul_f64 v[18:19], v[246:247], s[18:19]
	v_accvgpr_write_b32 a76, v62
	v_accvgpr_write_b32 a75, v61
	;; [unrolled: 1-line block ×3, first 2 shown]
	v_accvgpr_read_b32 v60, a82
	v_accvgpr_read_b32 v35, a111
	v_mul_f64 v[14:15], v[234:235], s[2:3]
	v_accvgpr_read_b32 v61, a83
	v_accvgpr_read_b32 v32, a116
	v_add_f64 v[18:19], v[18:19], v[34:35]
	v_accvgpr_read_b32 v34, a122
	v_mul_f64 v[26:27], v[238:239], s[14:15]
	v_mul_f64 v[28:29], v[254:255], s[34:35]
	v_accvgpr_read_b32 v33, a117
	v_accvgpr_read_b32 v35, a123
	v_add_f64 v[14:15], v[14:15], v[60:61]
	v_add_f64 v[28:29], v[28:29], v[32:33]
	v_accvgpr_read_b32 v32, a108
	v_add_f64 v[26:27], v[26:27], v[34:35]
	v_add_f64 v[14:15], v[128:129], v[14:15]
	v_mul_f64 v[54:55], v[252:253], s[26:27]
	v_accvgpr_read_b32 v30, a78
	v_accvgpr_read_b32 v33, a109
	v_add_f64 v[14:15], v[26:27], v[14:15]
	v_mul_f64 v[48:49], v[200:201], s[30:31]
	v_accvgpr_read_b32 v31, a79
	v_add_f64 v[32:33], v[54:55], v[32:33]
	v_add_f64 v[14:15], v[18:19], v[14:15]
	v_mul_f64 v[52:53], v[244:245], s[40:41]
	v_add_f64 v[30:31], v[48:49], v[30:31]
	v_add_f64 v[14:15], v[32:33], v[14:15]
	v_mul_f64 v[48:49], v[188:189], s[16:17]
	v_fma_f64 v[54:55], s[38:39], v[236:237], v[52:53]
	v_add_f64 v[14:15], v[28:29], v[14:15]
	v_mul_f64 v[34:35], v[198:199], s[20:21]
	v_fma_f64 v[50:51], s[2:3], v[242:243], v[48:49]
	v_add_f64 v[54:55], v[130:131], v[54:55]
	v_add_f64 v[14:15], v[30:31], v[14:15]
	v_mul_f64 v[30:31], v[202:203], s[24:25]
	v_fma_f64 v[46:47], s[10:11], v[250:251], v[34:35]
	v_add_f64 v[50:51], v[50:51], v[54:55]
	v_mul_f64 v[202:203], v[240:241], s[40:41]
	v_add_f64 v[46:47], v[46:47], v[50:51]
	v_mul_f64 v[50:51], v[204:205], s[52:53]
	v_mul_f64 v[56:57], v[194:195], s[24:25]
	;; [unrolled: 1-line block ×3, first 2 shown]
	v_fma_f64 v[204:205], v[234:235], s[38:39], -v[202:203]
	v_mul_f64 v[188:189], v[190:191], s[20:21]
	v_fma_f64 v[198:199], v[238:239], s[2:3], -v[194:195]
	v_add_f64 v[204:205], v[128:129], v[204:205]
	v_mul_f64 v[28:29], v[6:7], s[52:53]
	v_fma_f64 v[32:33], s[14:15], v[192:193], v[30:31]
	v_fma_f64 v[190:191], v[246:247], s[10:11], -v[188:189]
	v_add_f64 v[198:199], v[198:199], v[204:205]
	v_add_f64 v[14:15], v[24:25], v[14:15]
	v_mul_f64 v[0:1], v[0:1], s[28:29]
	v_fma_f64 v[6:7], s[30:31], v[196:197], v[28:29]
	v_add_f64 v[32:33], v[32:33], v[46:47]
	v_fma_f64 v[58:59], v[252:253], s[14:15], -v[56:57]
	v_add_f64 v[190:191], v[190:191], v[198:199]
	v_add_f64 v[14:15], v[22:23], v[14:15]
	v_mul_f64 v[22:23], v[214:215], s[44:45]
	v_fma_f64 v[26:27], s[18:19], v[206:207], v[0:1]
	v_add_f64 v[6:7], v[6:7], v[32:33]
	v_mul_f64 v[32:33], v[228:229], s[28:29]
	v_fma_f64 v[54:55], v[254:255], s[30:31], -v[50:51]
	v_add_f64 v[58:59], v[58:59], v[190:191]
	v_mul_f64 v[18:19], v[8:9], s[36:37]
	v_fma_f64 v[24:25], s[34:35], v[208:209], v[22:23]
	v_add_f64 v[6:7], v[26:27], v[6:7]
	v_mul_f64 v[26:27], v[2:3], s[44:45]
	v_fma_f64 v[46:47], v[200:201], s[18:19], -v[32:33]
	v_add_f64 v[54:55], v[54:55], v[58:59]
	v_fma_f64 v[8:9], s[26:27], v[232:233], v[18:19]
	v_add_f64 v[6:7], v[24:25], v[6:7]
	v_mul_f64 v[24:25], v[212:213], s[36:37]
	v_fma_f64 v[2:3], v[4:5], s[34:35], -v[26:27]
	v_add_f64 v[46:47], v[46:47], v[54:55]
	v_add_f64 v[8:9], v[8:9], v[6:7]
	v_fma_f64 v[6:7], v[210:211], s[26:27], -v[24:25]
	v_add_f64 v[2:3], v[2:3], v[46:47]
	v_fma_f64 v[46:47], v[236:237], s[38:39], -v[52:53]
	v_add_f64 v[6:7], v[6:7], v[2:3]
	v_fma_f64 v[2:3], v[232:233], s[26:27], -v[18:19]
	v_fma_f64 v[18:19], v[208:209], s[34:35], -v[22:23]
	v_fma_f64 v[22:23], v[196:197], s[30:31], -v[28:29]
	;; [unrolled: 1-line block ×5, first 2 shown]
	v_add_f64 v[46:47], v[130:131], v[46:47]
	v_add_f64 v[34:35], v[34:35], v[46:47]
	v_fmac_f64_e32 v[26:27], s[34:35], v[4:5]
	v_add_f64 v[4:5], v[130:131], v[134:135]
	v_add_f64 v[30:31], v[30:31], v[34:35]
	;; [unrolled: 1-line block ×5, first 2 shown]
	v_fma_f64 v[0:1], v[206:207], s[18:19], -v[0:1]
	v_add_f64 v[22:23], v[22:23], v[28:29]
	v_add_f64 v[4:5], v[4:5], v[138:139]
	v_add_f64 v[0:1], v[0:1], v[22:23]
	v_add_f64 v[4:5], v[4:5], v[150:151]
	v_add_f64 v[0:1], v[18:19], v[0:1]
	v_fmac_f64_e32 v[202:203], s[38:39], v[234:235]
	v_add_f64 v[4:5], v[4:5], v[154:155]
	v_add_f64 v[2:3], v[2:3], v[0:1]
	v_fmac_f64_e32 v[194:195], s[2:3], v[238:239]
	v_add_f64 v[0:1], v[128:129], v[202:203]
	v_add_f64 v[4:5], v[4:5], v[162:163]
	;; [unrolled: 3-line block ×6, first 2 shown]
	v_add_f64 v[0:1], v[32:33], v[0:1]
	v_add_f64 v[4:5], v[4:5], v[178:179]
	v_fmac_f64_e32 v[24:25], s[26:27], v[210:211]
	v_add_f64 v[0:1], v[26:27], v[0:1]
	v_add_f64 v[4:5], v[4:5], v[142:143]
	;; [unrolled: 1-line block ×4, first 2 shown]
	v_accvgpr_read_b32 v22, a64
	v_add_f64 v[4:5], v[4:5], v[118:119]
	v_accvgpr_read_b32 v24, a66
	v_accvgpr_read_b32 v25, a67
	v_add_f64 v[118:119], v[4:5], v[24:25]
	v_add_f64 v[4:5], v[128:129], v[132:133]
	;; [unrolled: 1-line block ×15, first 2 shown]
	v_accvgpr_read_b32 v23, a65
	v_add_f64 v[4:5], v[4:5], v[116:117]
	v_add_f64 v[116:117], v[4:5], v[22:23]
	v_accvgpr_read_b32 v4, a0
	v_mul_lo_u16_e32 v4, 17, v4
	v_lshl_add_u32 v4, v4, 4, v231
	v_accvgpr_read_b32 v64, a84
	v_accvgpr_read_b32 v60, a74
	ds_write_b128 v4, v[116:119]
	ds_write_b128 v4, v[0:3] offset:16
	ds_write_b128 v4, v[14:17] offset:32
	;; [unrolled: 1-line block ×13, first 2 shown]
	v_accvgpr_read_b32 v225, a11
	v_accvgpr_read_b32 v221, a7
	;; [unrolled: 1-line block ×18, first 2 shown]
	ds_write_b128 v4, v[180:183] offset:224
	ds_write_b128 v4, v[184:187] offset:240
	;; [unrolled: 1-line block ×3, first 2 shown]
.LBB0_17:
	s_or_b64 exec, exec, s[22:23]
	s_waitcnt lgkmcnt(0)
	s_barrier
	ds_read_b128 v[136:139], v20
	ds_read_b128 v[132:135], v20 offset:544
	ds_read_b128 v[160:163], v20 offset:4624
	;; [unrolled: 1-line block ×13, first 2 shown]
	s_and_saveexec_b64 s[2:3], s[0:1]
	s_cbranch_execz .LBB0_19
; %bb.18:
	ds_read_b128 v[180:183], v20 offset:3808
	ds_read_b128 v[184:187], v20 offset:7888
.LBB0_19:
	s_or_b64 exec, exec, s[2:3]
	v_accvgpr_read_b32 v8, a12
	v_accvgpr_read_b32 v10, a14
	;; [unrolled: 1-line block ×4, first 2 shown]
	s_waitcnt lgkmcnt(3)
	v_mul_f64 v[4:5], v[10:11], v[166:167]
	v_mul_f64 v[6:7], v[10:11], v[164:165]
	v_accvgpr_read_b32 v16, a32
	v_fmac_f64_e32 v[4:5], v[8:9], v[164:165]
	v_fma_f64 v[6:7], v[8:9], v[166:167], -v[6:7]
	v_mul_f64 v[8:9], v[224:225], v[160:161]
	v_accvgpr_read_b32 v18, a34
	v_accvgpr_read_b32 v19, a35
	v_fma_f64 v[14:15], v[222:223], v[162:163], -v[8:9]
	v_accvgpr_read_b32 v17, a33
	v_mul_f64 v[22:23], v[18:19], v[158:159]
	v_mul_f64 v[8:9], v[18:19], v[156:157]
	v_fmac_f64_e32 v[22:23], v[16:17], v[156:157]
	v_fma_f64 v[24:25], v[16:17], v[158:159], -v[8:9]
	v_accvgpr_read_b32 v16, a28
	v_accvgpr_read_b32 v18, a30
	v_accvgpr_read_b32 v19, a31
	v_accvgpr_read_b32 v17, a29
	v_mul_f64 v[26:27], v[18:19], v[154:155]
	v_mul_f64 v[8:9], v[18:19], v[152:153]
	v_fmac_f64_e32 v[26:27], v[16:17], v[152:153]
	v_fma_f64 v[46:47], v[16:17], v[154:155], -v[8:9]
	v_accvgpr_read_b32 v16, a20
	v_accvgpr_read_b32 v18, a22
	v_accvgpr_read_b32 v19, a23
	;; [unrolled: 8-line block ×3, first 2 shown]
	v_accvgpr_read_b32 v17, a17
	s_waitcnt lgkmcnt(1)
	v_mul_f64 v[52:53], v[18:19], v[150:151]
	v_mul_f64 v[8:9], v[18:19], v[148:149]
	v_fmac_f64_e32 v[52:53], v[16:17], v[148:149]
	v_fma_f64 v[54:55], v[16:17], v[150:151], -v[8:9]
	v_accvgpr_read_b32 v16, a24
	v_mul_f64 v[12:13], v[224:225], v[162:163]
	v_accvgpr_read_b32 v18, a26
	v_accvgpr_read_b32 v19, a27
	v_fmac_f64_e32 v[12:13], v[222:223], v[160:161]
	v_accvgpr_read_b32 v17, a25
	s_waitcnt lgkmcnt(0)
	v_mul_f64 v[8:9], v[18:19], v[140:141]
	v_add_f64 v[4:5], v[136:137], -v[4:5]
	v_add_f64 v[6:7], v[138:139], -v[6:7]
	;; [unrolled: 1-line block ×4, first 2 shown]
	v_mul_f64 v[56:57], v[18:19], v[142:143]
	v_fma_f64 v[58:59], v[16:17], v[142:143], -v[8:9]
	v_fma_f64 v[8:9], v[136:137], 2.0, -v[4:5]
	v_fma_f64 v[10:11], v[138:139], 2.0, -v[6:7]
	v_add_f64 v[12:13], v[132:133], -v[12:13]
	v_add_f64 v[14:15], v[134:135], -v[14:15]
	v_fma_f64 v[32:33], v[128:129], 2.0, -v[28:29]
	v_fma_f64 v[34:35], v[130:131], 2.0, -v[30:31]
	v_add_f64 v[128:129], v[124:125], -v[26:27]
	v_add_f64 v[130:131], v[126:127], -v[46:47]
	v_fmac_f64_e32 v[56:57], v[16:17], v[140:141]
	v_fma_f64 v[16:17], v[132:133], 2.0, -v[12:13]
	v_fma_f64 v[18:19], v[134:135], 2.0, -v[14:15]
	;; [unrolled: 1-line block ×4, first 2 shown]
	v_add_f64 v[132:133], v[120:121], -v[48:49]
	v_add_f64 v[134:135], v[122:123], -v[50:51]
	s_barrier
	ds_write_b128 v217, v[8:11]
	ds_write_b128 v217, v[4:7] offset:272
	ds_write_b128 v226, v[16:19]
	ds_write_b128 v226, v[12:15] offset:272
	;; [unrolled: 2-line block ×3, first 2 shown]
	v_accvgpr_read_b32 v4, a38
	v_fma_f64 v[120:121], v[120:121], 2.0, -v[132:133]
	v_fma_f64 v[122:123], v[122:123], 2.0, -v[134:135]
	v_add_f64 v[136:137], v[116:117], -v[52:53]
	v_add_f64 v[138:139], v[118:119], -v[54:55]
	ds_write_b128 v4, v[124:127]
	ds_write_b128 v4, v[128:131] offset:272
	v_accvgpr_read_b32 v4, a39
	v_fma_f64 v[116:117], v[116:117], 2.0, -v[136:137]
	v_fma_f64 v[118:119], v[118:119], 2.0, -v[138:139]
	v_add_f64 v[140:141], v[0:1], -v[56:57]
	v_add_f64 v[142:143], v[2:3], -v[58:59]
	ds_write_b128 v4, v[120:123]
	ds_write_b128 v4, v[132:135] offset:272
	v_accvgpr_read_b32 v4, a40
	v_add_u32_e32 v169, 0x220, v44
	v_add_u32_e32 v168, 0x440, v44
	v_fma_f64 v[0:1], v[0:1], 2.0, -v[140:141]
	v_fma_f64 v[2:3], v[2:3], 2.0, -v[142:143]
	ds_write_b128 v4, v[116:119]
	ds_write_b128 v4, v[136:139] offset:272
	v_accvgpr_read_b32 v4, a41
	ds_write_b128 v4, v[0:3]
	ds_write_b128 v4, v[140:143] offset:272
	s_and_saveexec_b64 s[2:3], s[0:1]
	s_cbranch_execz .LBB0_21
; %bb.20:
	v_mul_f64 v[0:1], v[220:221], v[184:185]
	v_fma_f64 v[0:1], v[218:219], v[186:187], -v[0:1]
	v_add_f64 v[2:3], v[182:183], -v[0:1]
	v_mul_f64 v[0:1], v[220:221], v[186:187]
	v_fmac_f64_e32 v[0:1], v[218:219], v[184:185]
	v_add_f64 v[0:1], v[180:181], -v[0:1]
	v_fma_f64 v[6:7], v[182:183], 2.0, -v[2:3]
	v_fma_f64 v[4:5], v[180:181], 2.0, -v[0:1]
	v_lshl_add_u32 v8, v216, 4, v231
	ds_write_b128 v8, v[4:7] offset:7616
	ds_write_b128 v8, v[0:3] offset:7888
.LBB0_21:
	s_or_b64 exec, exec, s[2:3]
	s_waitcnt lgkmcnt(0)
	s_barrier
	ds_read_b128 v[0:3], v20
	ds_read_b128 v[4:7], v20 offset:544
	ds_read_b128 v[28:31], v20 offset:5440
	;; [unrolled: 1-line block ×14, first 2 shown]
	s_waitcnt lgkmcnt(4)
	v_mul_f64 v[22:23], v[42:43], v[132:133]
	v_fma_f64 v[46:47], v[40:41], v[134:135], -v[22:23]
	v_mul_f64 v[22:23], v[38:39], v[28:29]
	v_mul_f64 v[26:27], v[42:43], v[134:135]
	;; [unrolled: 1-line block ×3, first 2 shown]
	v_fma_f64 v[30:31], v[36:37], v[30:31], -v[22:23]
	v_mul_f64 v[50:51], v[42:43], v[118:119]
	v_mul_f64 v[22:23], v[42:43], v[116:117]
	v_fmac_f64_e32 v[26:27], v[40:41], v[132:133]
	v_fmac_f64_e32 v[50:51], v[40:41], v[116:117]
	v_fma_f64 v[40:41], v[40:41], v[118:119], -v[22:23]
	v_mul_f64 v[42:43], v[38:39], v[34:35]
	v_mul_f64 v[22:23], v[38:39], v[32:33]
	v_fmac_f64_e32 v[42:43], v[36:37], v[32:33]
	v_fma_f64 v[38:39], v[36:37], v[34:35], -v[22:23]
	v_accvgpr_read_b32 v32, a50
	v_mul_f64 v[22:23], v[66:67], v[120:121]
	v_accvgpr_read_b32 v34, a52
	v_accvgpr_read_b32 v35, a53
	v_fma_f64 v[54:55], v[64:65], v[122:123], -v[22:23]
	v_accvgpr_read_b32 v33, a51
	v_mul_f64 v[56:57], v[34:35], v[126:127]
	v_mul_f64 v[22:23], v[34:35], v[124:125]
	v_fmac_f64_e32 v[56:57], v[32:33], v[124:125]
	v_fma_f64 v[58:59], v[32:33], v[126:127], -v[22:23]
	v_accvgpr_read_b32 v32, a54
	v_mul_f64 v[52:53], v[66:67], v[122:123]
	v_accvgpr_read_b32 v34, a56
	v_accvgpr_read_b32 v35, a57
	v_fmac_f64_e32 v[52:53], v[64:65], v[120:121]
	v_accvgpr_read_b32 v33, a55
	s_waitcnt lgkmcnt(2)
	v_mul_f64 v[64:65], v[34:35], v[138:139]
	v_mul_f64 v[22:23], v[34:35], v[136:137]
	v_fmac_f64_e32 v[64:65], v[32:33], v[136:137]
	v_fma_f64 v[66:67], v[32:33], v[138:139], -v[22:23]
	v_accvgpr_read_b32 v32, a42
	v_accvgpr_read_b32 v34, a44
	;; [unrolled: 1-line block ×4, first 2 shown]
	v_mul_f64 v[116:117], v[34:35], v[130:131]
	v_mul_f64 v[22:23], v[34:35], v[128:129]
	v_fmac_f64_e32 v[116:117], v[32:33], v[128:129]
	v_fma_f64 v[118:119], v[32:33], v[130:131], -v[22:23]
	v_accvgpr_read_b32 v32, a46
	v_fmac_f64_e32 v[48:49], v[36:37], v[28:29]
	s_waitcnt lgkmcnt(1)
	v_mul_f64 v[22:23], v[62:63], v[140:141]
	v_accvgpr_read_b32 v34, a48
	v_accvgpr_read_b32 v35, a49
	v_fma_f64 v[122:123], v[60:61], v[142:143], -v[22:23]
	v_accvgpr_read_b32 v33, a47
	s_waitcnt lgkmcnt(0)
	v_mul_f64 v[22:23], v[34:35], v[144:145]
	v_add_f64 v[24:25], v[26:27], v[48:49]
	s_mov_b32 s0, 0xe8584caa
	v_fma_f64 v[126:127], v[32:33], v[146:147], -v[22:23]
	v_add_f64 v[22:23], v[0:1], v[26:27]
	v_fmac_f64_e32 v[0:1], -0.5, v[24:25]
	v_add_f64 v[24:25], v[46:47], -v[30:31]
	s_mov_b32 s1, 0xbfebb67a
	s_mov_b32 s3, 0x3febb67a
	s_mov_b32 s2, s0
	v_fma_f64 v[28:29], s[0:1], v[24:25], v[0:1]
	v_fmac_f64_e32 v[0:1], s[2:3], v[24:25]
	v_add_f64 v[24:25], v[2:3], v[46:47]
	v_add_f64 v[24:25], v[24:25], v[30:31]
	;; [unrolled: 1-line block ×3, first 2 shown]
	v_fmac_f64_e32 v[2:3], -0.5, v[30:31]
	v_add_f64 v[26:27], v[26:27], -v[48:49]
	v_mul_f64 v[124:125], v[34:35], v[146:147]
	v_fma_f64 v[30:31], s[2:3], v[26:27], v[2:3]
	v_fmac_f64_e32 v[2:3], s[0:1], v[26:27]
	v_add_f64 v[26:27], v[4:5], v[50:51]
	v_fmac_f64_e32 v[124:125], v[32:33], v[144:145]
	v_add_f64 v[32:33], v[26:27], v[42:43]
	v_add_f64 v[26:27], v[50:51], v[42:43]
	v_fmac_f64_e32 v[4:5], -0.5, v[26:27]
	v_add_f64 v[26:27], v[40:41], -v[38:39]
	v_fma_f64 v[36:37], s[0:1], v[26:27], v[4:5]
	v_fmac_f64_e32 v[4:5], s[2:3], v[26:27]
	v_add_f64 v[26:27], v[6:7], v[40:41]
	v_add_f64 v[34:35], v[26:27], v[38:39]
	;; [unrolled: 1-line block ×3, first 2 shown]
	v_fmac_f64_e32 v[6:7], -0.5, v[26:27]
	v_add_f64 v[26:27], v[50:51], -v[42:43]
	v_fma_f64 v[38:39], s[2:3], v[26:27], v[6:7]
	v_fmac_f64_e32 v[6:7], s[0:1], v[26:27]
	v_add_f64 v[26:27], v[8:9], v[52:53]
	v_add_f64 v[40:41], v[26:27], v[56:57]
	;; [unrolled: 1-line block ×3, first 2 shown]
	v_fmac_f64_e32 v[8:9], -0.5, v[26:27]
	v_add_f64 v[26:27], v[54:55], -v[58:59]
	v_add_f64 v[22:23], v[22:23], v[48:49]
	v_fma_f64 v[48:49], s[0:1], v[26:27], v[8:9]
	v_fmac_f64_e32 v[8:9], s[2:3], v[26:27]
	v_add_f64 v[26:27], v[10:11], v[54:55]
	v_add_f64 v[42:43], v[26:27], v[58:59]
	;; [unrolled: 1-line block ×3, first 2 shown]
	v_fmac_f64_e32 v[10:11], -0.5, v[26:27]
	v_add_f64 v[26:27], v[52:53], -v[56:57]
	v_fma_f64 v[50:51], s[2:3], v[26:27], v[10:11]
	v_fmac_f64_e32 v[10:11], s[0:1], v[26:27]
	v_add_f64 v[26:27], v[12:13], v[64:65]
	v_add_f64 v[52:53], v[26:27], v[116:117]
	;; [unrolled: 1-line block ×3, first 2 shown]
	v_fmac_f64_e32 v[12:13], -0.5, v[26:27]
	v_add_f64 v[26:27], v[66:67], -v[118:119]
	v_fma_f64 v[56:57], s[0:1], v[26:27], v[12:13]
	v_fmac_f64_e32 v[12:13], s[2:3], v[26:27]
	v_add_f64 v[26:27], v[14:15], v[66:67]
	v_mul_f64 v[120:121], v[62:63], v[142:143]
	v_add_f64 v[54:55], v[26:27], v[118:119]
	v_add_f64 v[26:27], v[66:67], v[118:119]
	v_fmac_f64_e32 v[120:121], v[60:61], v[140:141]
	v_fmac_f64_e32 v[14:15], -0.5, v[26:27]
	v_add_f64 v[26:27], v[64:65], -v[116:117]
	v_fma_f64 v[58:59], s[2:3], v[26:27], v[14:15]
	v_fmac_f64_e32 v[14:15], s[0:1], v[26:27]
	v_add_f64 v[26:27], v[16:17], v[120:121]
	v_add_f64 v[60:61], v[26:27], v[124:125]
	;; [unrolled: 1-line block ×3, first 2 shown]
	v_fmac_f64_e32 v[16:17], -0.5, v[26:27]
	v_add_f64 v[26:27], v[122:123], -v[126:127]
	v_fma_f64 v[64:65], s[0:1], v[26:27], v[16:17]
	v_fmac_f64_e32 v[16:17], s[2:3], v[26:27]
	v_add_f64 v[26:27], v[18:19], v[122:123]
	v_add_f64 v[62:63], v[26:27], v[126:127]
	;; [unrolled: 1-line block ×3, first 2 shown]
	v_fmac_f64_e32 v[18:19], -0.5, v[26:27]
	v_add_f64 v[26:27], v[120:121], -v[124:125]
	v_fma_f64 v[66:67], s[2:3], v[26:27], v[18:19]
	v_fmac_f64_e32 v[18:19], s[0:1], v[26:27]
	s_barrier
	ds_write_b128 v20, v[22:25]
	ds_write_b128 v20, v[28:31] offset:544
	ds_write_b128 v20, v[0:3] offset:1088
	ds_write_b128 v20, v[32:35] offset:1632
	ds_write_b128 v20, v[36:39] offset:2176
	ds_write_b128 v20, v[4:7] offset:2720
	v_accvgpr_read_b32 v0, a58
	ds_write_b128 v0, v[40:43] offset:3264
	ds_write_b128 v0, v[48:51] offset:3808
	;; [unrolled: 1-line block ×9, first 2 shown]
	s_waitcnt lgkmcnt(0)
	s_barrier
	ds_read_b128 v[0:3], v20
	ds_read_b128 v[4:7], v20 offset:544
	ds_read_b128 v[12:15], v20 offset:3264
	;; [unrolled: 1-line block ×14, first 2 shown]
	s_waitcnt lgkmcnt(8)
	v_mul_f64 v[66:67], v[82:83], v[32:33]
	v_mul_f64 v[20:21], v[82:83], v[30:31]
	;; [unrolled: 1-line block ×3, first 2 shown]
	v_fmac_f64_e32 v[82:83], v[76:77], v[12:13]
	v_mul_f64 v[12:13], v[78:79], v[12:13]
	v_fma_f64 v[76:77], v[76:77], v[14:15], -v[12:13]
	s_waitcnt lgkmcnt(4)
	v_mul_f64 v[78:79], v[74:75], v[48:49]
	v_mul_f64 v[12:13], v[74:75], v[46:47]
	v_fmac_f64_e32 v[78:79], v[72:73], v[46:47]
	v_fma_f64 v[46:47], v[72:73], v[48:49], -v[12:13]
	v_mul_f64 v[48:49], v[70:71], v[24:25]
	v_mul_f64 v[12:13], v[70:71], v[22:23]
	v_fmac_f64_e32 v[48:49], v[68:69], v[22:23]
	v_fma_f64 v[68:69], v[68:69], v[24:25], -v[12:13]
	v_mul_f64 v[12:13], v[98:99], v[34:35]
	v_fma_f64 v[72:73], v[96:97], v[36:37], -v[12:13]
	v_mul_f64 v[74:75], v[94:95], v[18:19]
	v_mul_f64 v[12:13], v[94:95], v[16:17]
	v_fmac_f64_e32 v[74:75], v[92:93], v[16:17]
	v_fma_f64 v[92:93], v[92:93], v[18:19], -v[12:13]
	s_waitcnt lgkmcnt(2)
	v_mul_f64 v[94:95], v[90:91], v[56:57]
	v_mul_f64 v[12:13], v[90:91], v[54:55]
	v_fmac_f64_e32 v[94:95], v[88:89], v[54:55]
	v_fma_f64 v[88:89], v[88:89], v[56:57], -v[12:13]
	v_mul_f64 v[56:57], v[86:87], v[28:29]
	v_mul_f64 v[12:13], v[86:87], v[26:27]
	v_fmac_f64_e32 v[56:57], v[84:85], v[26:27]
	v_fma_f64 v[84:85], v[84:85], v[28:29], -v[12:13]
	v_mul_f64 v[12:13], v[114:115], v[38:39]
	v_fma_f64 v[28:29], v[112:113], v[40:41], -v[12:13]
	v_mul_f64 v[12:13], v[110:111], v[50:51]
	v_fmac_f64_e32 v[66:67], v[80:81], v[30:31]
	v_fma_f64 v[30:31], v[108:109], v[52:53], -v[12:13]
	s_waitcnt lgkmcnt(1)
	v_mul_f64 v[12:13], v[106:107], v[58:59]
	v_fma_f64 v[80:81], v[80:81], v[32:33], -v[20:21]
	v_mul_f64 v[70:71], v[98:99], v[36:37]
	v_fma_f64 v[32:33], v[104:105], v[60:61], -v[12:13]
	s_waitcnt lgkmcnt(0)
	v_mul_f64 v[12:13], v[102:103], v[62:63]
	v_fmac_f64_e32 v[70:71], v[96:97], v[34:35]
	v_fma_f64 v[34:35], v[100:101], v[64:65], -v[12:13]
	v_add_f64 v[12:13], v[0:1], v[66:67]
	v_add_f64 v[12:13], v[12:13], v[82:83]
	;; [unrolled: 1-line block ×5, first 2 shown]
	s_mov_b32 s2, 0x134454ff
	v_fma_f64 v[12:13], -0.5, v[12:13], v[0:1]
	v_add_f64 v[14:15], v[80:81], -v[68:69]
	s_mov_b32 s3, 0xbfee6f0e
	s_mov_b32 s0, 0x4755a5e
	;; [unrolled: 1-line block ×4, first 2 shown]
	v_fma_f64 v[20:21], s[2:3], v[14:15], v[12:13]
	v_add_f64 v[18:19], v[76:77], -v[46:47]
	s_mov_b32 s1, 0xbfe2cf23
	v_add_f64 v[22:23], v[66:67], -v[82:83]
	v_add_f64 v[24:25], v[48:49], -v[78:79]
	s_mov_b32 s10, 0x372fe950
	v_fmac_f64_e32 v[12:13], s[14:15], v[14:15]
	s_mov_b32 s17, 0x3fe2cf23
	s_mov_b32 s16, s0
	v_fmac_f64_e32 v[20:21], s[0:1], v[18:19]
	v_add_f64 v[22:23], v[22:23], v[24:25]
	s_mov_b32 s11, 0x3fd3c6ef
	v_fmac_f64_e32 v[12:13], s[16:17], v[18:19]
	v_fmac_f64_e32 v[20:21], s[10:11], v[22:23]
	v_fmac_f64_e32 v[12:13], s[10:11], v[22:23]
	v_add_f64 v[22:23], v[66:67], v[48:49]
	v_fmac_f64_e32 v[0:1], -0.5, v[22:23]
	v_fma_f64 v[24:25], s[14:15], v[18:19], v[0:1]
	v_fmac_f64_e32 v[0:1], s[2:3], v[18:19]
	v_fmac_f64_e32 v[24:25], s[0:1], v[14:15]
	;; [unrolled: 1-line block ×3, first 2 shown]
	v_add_f64 v[14:15], v[2:3], v[80:81]
	v_add_f64 v[14:15], v[14:15], v[76:77]
	v_add_f64 v[14:15], v[14:15], v[46:47]
	v_mul_f64 v[36:37], v[114:115], v[40:41]
	v_add_f64 v[22:23], v[82:83], -v[66:67]
	v_add_f64 v[26:27], v[78:79], -v[48:49]
	v_add_f64 v[18:19], v[14:15], v[68:69]
	v_add_f64 v[14:15], v[76:77], v[46:47]
	v_fmac_f64_e32 v[36:37], v[112:113], v[38:39]
	v_mul_f64 v[38:39], v[110:111], v[52:53]
	v_add_f64 v[22:23], v[22:23], v[26:27]
	v_fma_f64 v[14:15], -0.5, v[14:15], v[2:3]
	v_add_f64 v[48:49], v[66:67], -v[48:49]
	v_fmac_f64_e32 v[38:39], v[108:109], v[50:51]
	v_fmac_f64_e32 v[24:25], s[10:11], v[22:23]
	;; [unrolled: 1-line block ×3, first 2 shown]
	v_fma_f64 v[22:23], s[14:15], v[48:49], v[14:15]
	v_add_f64 v[50:51], v[82:83], -v[78:79]
	v_add_f64 v[26:27], v[80:81], -v[76:77]
	;; [unrolled: 1-line block ×3, first 2 shown]
	v_fmac_f64_e32 v[14:15], s[2:3], v[48:49]
	v_fmac_f64_e32 v[22:23], s[16:17], v[50:51]
	v_add_f64 v[26:27], v[26:27], v[52:53]
	v_fmac_f64_e32 v[14:15], s[0:1], v[50:51]
	v_fmac_f64_e32 v[22:23], s[10:11], v[26:27]
	v_fmac_f64_e32 v[14:15], s[10:11], v[26:27]
	v_add_f64 v[26:27], v[80:81], v[68:69]
	v_fmac_f64_e32 v[2:3], -0.5, v[26:27]
	v_fma_f64 v[26:27], s[2:3], v[50:51], v[2:3]
	v_fmac_f64_e32 v[2:3], s[14:15], v[50:51]
	v_fmac_f64_e32 v[26:27], s[16:17], v[48:49]
	;; [unrolled: 1-line block ×3, first 2 shown]
	v_add_f64 v[48:49], v[74:75], v[94:95]
	v_mul_f64 v[40:41], v[106:107], v[60:61]
	v_add_f64 v[52:53], v[76:77], -v[80:81]
	v_add_f64 v[46:47], v[46:47], -v[68:69]
	v_fma_f64 v[50:51], -0.5, v[48:49], v[4:5]
	v_add_f64 v[48:49], v[72:73], -v[84:85]
	v_fmac_f64_e32 v[40:41], v[104:105], v[58:59]
	v_add_f64 v[46:47], v[52:53], v[46:47]
	v_fma_f64 v[54:55], s[2:3], v[48:49], v[50:51]
	v_add_f64 v[52:53], v[92:93], -v[88:89]
	v_add_f64 v[58:59], v[70:71], -v[74:75]
	v_add_f64 v[60:61], v[56:57], -v[94:95]
	v_fmac_f64_e32 v[50:51], s[14:15], v[48:49]
	v_fmac_f64_e32 v[54:55], s[0:1], v[52:53]
	v_add_f64 v[58:59], v[58:59], v[60:61]
	v_fmac_f64_e32 v[50:51], s[16:17], v[52:53]
	v_fmac_f64_e32 v[54:55], s[10:11], v[58:59]
	;; [unrolled: 1-line block ×3, first 2 shown]
	v_add_f64 v[58:59], v[70:71], v[56:57]
	v_mul_f64 v[42:43], v[102:103], v[64:65]
	v_fmac_f64_e32 v[26:27], s[10:11], v[46:47]
	v_fmac_f64_e32 v[2:3], s[10:11], v[46:47]
	v_add_f64 v[46:47], v[4:5], v[70:71]
	v_fmac_f64_e32 v[4:5], -0.5, v[58:59]
	v_fmac_f64_e32 v[42:43], v[100:101], v[62:63]
	v_add_f64 v[46:47], v[46:47], v[74:75]
	v_fma_f64 v[58:59], s[14:15], v[52:53], v[4:5]
	v_add_f64 v[60:61], v[74:75], -v[70:71]
	v_add_f64 v[62:63], v[94:95], -v[56:57]
	v_fmac_f64_e32 v[4:5], s[2:3], v[52:53]
	v_add_f64 v[52:53], v[92:93], v[88:89]
	v_add_f64 v[46:47], v[46:47], v[94:95]
	v_fmac_f64_e32 v[58:59], s[0:1], v[48:49]
	v_add_f64 v[60:61], v[60:61], v[62:63]
	v_fmac_f64_e32 v[4:5], s[16:17], v[48:49]
	v_fma_f64 v[52:53], -0.5, v[52:53], v[6:7]
	v_add_f64 v[62:63], v[70:71], -v[56:57]
	v_add_f64 v[46:47], v[46:47], v[56:57]
	v_fmac_f64_e32 v[58:59], s[10:11], v[60:61]
	v_fmac_f64_e32 v[4:5], s[10:11], v[60:61]
	v_fma_f64 v[56:57], s[14:15], v[62:63], v[52:53]
	v_add_f64 v[64:65], v[74:75], -v[94:95]
	v_add_f64 v[60:61], v[72:73], -v[92:93]
	;; [unrolled: 1-line block ×3, first 2 shown]
	v_fmac_f64_e32 v[52:53], s[2:3], v[62:63]
	v_fmac_f64_e32 v[56:57], s[16:17], v[64:65]
	v_add_f64 v[60:61], v[60:61], v[66:67]
	v_fmac_f64_e32 v[52:53], s[0:1], v[64:65]
	v_fmac_f64_e32 v[56:57], s[10:11], v[60:61]
	;; [unrolled: 1-line block ×3, first 2 shown]
	v_add_f64 v[60:61], v[72:73], v[84:85]
	v_add_f64 v[48:49], v[6:7], v[72:73]
	v_fmac_f64_e32 v[6:7], -0.5, v[60:61]
	v_fma_f64 v[60:61], s[2:3], v[64:65], v[6:7]
	v_add_f64 v[66:67], v[92:93], -v[72:73]
	v_add_f64 v[68:69], v[88:89], -v[84:85]
	v_fmac_f64_e32 v[6:7], s[14:15], v[64:65]
	v_fmac_f64_e32 v[60:61], s[16:17], v[62:63]
	v_add_f64 v[66:67], v[66:67], v[68:69]
	v_fmac_f64_e32 v[6:7], s[0:1], v[62:63]
	v_add_f64 v[64:65], v[38:39], v[40:41]
	v_fmac_f64_e32 v[60:61], s[10:11], v[66:67]
	v_fmac_f64_e32 v[6:7], s[10:11], v[66:67]
	v_fma_f64 v[66:67], -0.5, v[64:65], v[8:9]
	v_add_f64 v[64:65], v[28:29], -v[34:35]
	v_fma_f64 v[70:71], s[2:3], v[64:65], v[66:67]
	v_add_f64 v[68:69], v[30:31], -v[32:33]
	v_add_f64 v[72:73], v[36:37], -v[38:39]
	;; [unrolled: 1-line block ×3, first 2 shown]
	v_fmac_f64_e32 v[66:67], s[14:15], v[64:65]
	v_fmac_f64_e32 v[70:71], s[0:1], v[68:69]
	v_add_f64 v[72:73], v[72:73], v[74:75]
	v_fmac_f64_e32 v[66:67], s[16:17], v[68:69]
	v_fmac_f64_e32 v[70:71], s[10:11], v[72:73]
	;; [unrolled: 1-line block ×3, first 2 shown]
	v_add_f64 v[72:73], v[36:37], v[42:43]
	v_add_f64 v[62:63], v[8:9], v[36:37]
	v_fmac_f64_e32 v[8:9], -0.5, v[72:73]
	v_add_f64 v[62:63], v[62:63], v[38:39]
	v_fma_f64 v[74:75], s[14:15], v[68:69], v[8:9]
	v_add_f64 v[72:73], v[38:39], -v[36:37]
	v_add_f64 v[76:77], v[40:41], -v[42:43]
	v_fmac_f64_e32 v[8:9], s[2:3], v[68:69]
	v_add_f64 v[68:69], v[30:31], v[32:33]
	v_add_f64 v[62:63], v[62:63], v[40:41]
	v_fmac_f64_e32 v[74:75], s[0:1], v[64:65]
	v_add_f64 v[72:73], v[72:73], v[76:77]
	v_fmac_f64_e32 v[8:9], s[16:17], v[64:65]
	v_fma_f64 v[68:69], -0.5, v[68:69], v[10:11]
	v_add_f64 v[36:37], v[36:37], -v[42:43]
	v_add_f64 v[62:63], v[62:63], v[42:43]
	v_fmac_f64_e32 v[74:75], s[10:11], v[72:73]
	v_fmac_f64_e32 v[8:9], s[10:11], v[72:73]
	v_fma_f64 v[72:73], s[14:15], v[36:37], v[68:69]
	v_add_f64 v[38:39], v[38:39], -v[40:41]
	v_add_f64 v[40:41], v[28:29], -v[30:31]
	;; [unrolled: 1-line block ×3, first 2 shown]
	v_fmac_f64_e32 v[68:69], s[2:3], v[36:37]
	v_fmac_f64_e32 v[72:73], s[16:17], v[38:39]
	v_add_f64 v[40:41], v[40:41], v[42:43]
	v_fmac_f64_e32 v[68:69], s[0:1], v[38:39]
	v_fmac_f64_e32 v[72:73], s[10:11], v[40:41]
	;; [unrolled: 1-line block ×3, first 2 shown]
	v_add_f64 v[40:41], v[28:29], v[34:35]
	v_add_f64 v[64:65], v[10:11], v[28:29]
	v_fmac_f64_e32 v[10:11], -0.5, v[40:41]
	v_add_f64 v[48:49], v[48:49], v[92:93]
	v_add_f64 v[64:65], v[64:65], v[30:31]
	v_fma_f64 v[76:77], s[2:3], v[38:39], v[10:11]
	v_add_f64 v[28:29], v[30:31], -v[28:29]
	v_add_f64 v[30:31], v[32:33], -v[34:35]
	v_fmac_f64_e32 v[10:11], s[14:15], v[38:39]
	v_add_f64 v[48:49], v[48:49], v[88:89]
	v_add_f64 v[64:65], v[64:65], v[32:33]
	v_fmac_f64_e32 v[76:77], s[16:17], v[36:37]
	v_add_f64 v[28:29], v[28:29], v[30:31]
	v_fmac_f64_e32 v[10:11], s[0:1], v[36:37]
	v_add_f64 v[48:49], v[48:49], v[84:85]
	v_add_f64 v[64:65], v[64:65], v[34:35]
	v_fmac_f64_e32 v[76:77], s[10:11], v[28:29]
	v_fmac_f64_e32 v[10:11], s[10:11], v[28:29]
	ds_write_b128 v44, v[16:19]
	ds_write_b128 v44, v[20:23] offset:1632
	ds_write_b128 v44, v[24:27] offset:3264
	;; [unrolled: 1-line block ×14, first 2 shown]
	s_and_b64 s[0:1], exec, vcc
	v_accvgpr_read_b32 v22, a0
	v_accvgpr_read_b32 v24, a2
	s_waitcnt lgkmcnt(0)
	s_barrier
	s_mov_b64 exec, s[0:1]
	s_cbranch_execz .LBB0_23
; %bb.22:
	global_load_dwordx4 v[2:5], v230, s[8:9]
	v_mad_u64_u32 v[14:15], s[0:1], s6, v24, 0
	v_mad_u64_u32 v[16:17], s[2:3], s4, v22, 0
	ds_read_b128 v[6:9], v44
	ds_read_b128 v[10:13], v44 offset:480
	v_mov_b32_e32 v18, v15
	v_mov_b32_e32 v20, v17
	v_mad_u64_u32 v[18:19], s[2:3], s7, v24, v[18:19]
	v_mov_b32_e32 v0, s12
	v_mov_b32_e32 v1, s13
	v_mad_u64_u32 v[20:21], s[2:3], s5, v22, v[20:21]
	v_mov_b32_e32 v15, v18
	v_mov_b32_e32 v17, v20
	v_lshl_add_u64 v[0:1], v[14:15], 4, v[0:1]
	s_mov_b32 s0, 0x10101010
	v_lshl_add_u64 v[14:15], v[16:17], 4, v[0:1]
	s_mov_b32 s1, 0x3f601010
	s_mul_i32 s2, s5, 0x1e0
	v_mov_b32_e32 v231, 0
	s_movk_i32 s3, 0x1000
	s_waitcnt vmcnt(0) lgkmcnt(1)
	v_mul_f64 v[16:17], v[8:9], v[4:5]
	v_mul_f64 v[4:5], v[6:7], v[4:5]
	v_fmac_f64_e32 v[16:17], v[6:7], v[2:3]
	v_fma_f64 v[4:5], v[2:3], v[8:9], -v[4:5]
	v_mul_f64 v[2:3], v[16:17], s[0:1]
	v_mul_f64 v[4:5], v[4:5], s[0:1]
	global_store_dwordx4 v[14:15], v[2:5], off
	global_load_dwordx4 v[4:7], v230, s[8:9] offset:480
	s_waitcnt vmcnt(0) lgkmcnt(0)
	v_mul_f64 v[8:9], v[12:13], v[6:7]
	v_mov_b32_e32 v2, 0x1e0
	v_mul_f64 v[6:7], v[10:11], v[6:7]
	v_mad_u64_u32 v[16:17], s[6:7], s4, v2, v[14:15]
	v_fmac_f64_e32 v[8:9], v[10:11], v[4:5]
	v_fma_f64 v[6:7], v[4:5], v[12:13], -v[6:7]
	v_add_u32_e32 v17, s2, v17
	v_mul_f64 v[4:5], v[8:9], s[0:1]
	v_mul_f64 v[6:7], v[6:7], s[0:1]
	global_store_dwordx4 v[16:17], v[4:7], off
	global_load_dwordx4 v[4:7], v230, s[8:9] offset:960
	ds_read_b128 v[8:11], v44 offset:960
	ds_read_b128 v[12:15], v44 offset:1440
	v_mad_u64_u32 v[16:17], s[6:7], s4, v2, v[16:17]
	v_add_u32_e32 v17, s2, v17
	s_waitcnt vmcnt(0) lgkmcnt(1)
	v_mul_f64 v[18:19], v[10:11], v[6:7]
	v_mul_f64 v[6:7], v[8:9], v[6:7]
	v_fmac_f64_e32 v[18:19], v[8:9], v[4:5]
	v_fma_f64 v[6:7], v[4:5], v[10:11], -v[6:7]
	v_mul_f64 v[4:5], v[18:19], s[0:1]
	v_mul_f64 v[6:7], v[6:7], s[0:1]
	global_store_dwordx4 v[16:17], v[4:7], off
	global_load_dwordx4 v[4:7], v230, s[8:9] offset:1440
	v_mad_u64_u32 v[16:17], s[6:7], s4, v2, v[16:17]
	v_add_u32_e32 v17, s2, v17
	s_waitcnt vmcnt(0) lgkmcnt(0)
	v_mul_f64 v[8:9], v[14:15], v[6:7]
	v_mul_f64 v[6:7], v[12:13], v[6:7]
	v_fmac_f64_e32 v[8:9], v[12:13], v[4:5]
	v_fma_f64 v[6:7], v[4:5], v[14:15], -v[6:7]
	v_mul_f64 v[4:5], v[8:9], s[0:1]
	v_mul_f64 v[6:7], v[6:7], s[0:1]
	global_store_dwordx4 v[16:17], v[4:7], off
	global_load_dwordx4 v[4:7], v230, s[8:9] offset:1920
	ds_read_b128 v[8:11], v44 offset:1920
	ds_read_b128 v[12:15], v44 offset:2400
	v_mad_u64_u32 v[16:17], s[6:7], s4, v2, v[16:17]
	v_add_u32_e32 v17, s2, v17
	s_waitcnt vmcnt(0) lgkmcnt(1)
	v_mul_f64 v[18:19], v[10:11], v[6:7]
	v_mul_f64 v[6:7], v[8:9], v[6:7]
	v_fmac_f64_e32 v[18:19], v[8:9], v[4:5]
	v_fma_f64 v[6:7], v[4:5], v[10:11], -v[6:7]
	v_mul_f64 v[4:5], v[18:19], s[0:1]
	v_mul_f64 v[6:7], v[6:7], s[0:1]
	global_store_dwordx4 v[16:17], v[4:7], off
	global_load_dwordx4 v[4:7], v230, s[8:9] offset:2400
	v_mad_u64_u32 v[16:17], s[6:7], s4, v2, v[16:17]
	v_add_u32_e32 v17, s2, v17
	s_waitcnt vmcnt(0) lgkmcnt(0)
	v_mul_f64 v[8:9], v[14:15], v[6:7]
	v_mul_f64 v[6:7], v[12:13], v[6:7]
	v_fmac_f64_e32 v[8:9], v[12:13], v[4:5]
	v_fma_f64 v[6:7], v[4:5], v[14:15], -v[6:7]
	v_mul_f64 v[4:5], v[8:9], s[0:1]
	v_mul_f64 v[6:7], v[6:7], s[0:1]
	global_store_dwordx4 v[16:17], v[4:7], off
	global_load_dwordx4 v[4:7], v230, s[8:9] offset:2880
	ds_read_b128 v[8:11], v44 offset:2880
	ds_read_b128 v[12:15], v44 offset:3360
	v_mad_u64_u32 v[16:17], s[6:7], s4, v2, v[16:17]
	v_add_u32_e32 v17, s2, v17
	s_waitcnt vmcnt(0) lgkmcnt(1)
	v_mul_f64 v[18:19], v[10:11], v[6:7]
	v_mul_f64 v[6:7], v[8:9], v[6:7]
	v_fmac_f64_e32 v[18:19], v[8:9], v[4:5]
	v_fma_f64 v[6:7], v[4:5], v[10:11], -v[6:7]
	v_mul_f64 v[4:5], v[18:19], s[0:1]
	v_mul_f64 v[6:7], v[6:7], s[0:1]
	global_store_dwordx4 v[16:17], v[4:7], off
	global_load_dwordx4 v[4:7], v230, s[8:9] offset:3360
	v_mad_u64_u32 v[16:17], s[6:7], s4, v2, v[16:17]
	v_add_u32_e32 v17, s2, v17
	v_lshl_add_u64 v[18:19], s[8:9], 0, v[230:231]
	v_add_co_u32_e32 v18, vcc, s3, v18
	s_waitcnt vmcnt(0) lgkmcnt(0)
	v_mul_f64 v[8:9], v[14:15], v[6:7]
	v_mul_f64 v[6:7], v[12:13], v[6:7]
	v_fmac_f64_e32 v[8:9], v[12:13], v[4:5]
	v_fma_f64 v[6:7], v[4:5], v[14:15], -v[6:7]
	v_mul_f64 v[4:5], v[8:9], s[0:1]
	v_mul_f64 v[6:7], v[6:7], s[0:1]
	global_store_dwordx4 v[16:17], v[4:7], off
	global_load_dwordx4 v[4:7], v230, s[8:9] offset:3840
	ds_read_b128 v[8:11], v44 offset:3840
	ds_read_b128 v[12:15], v44 offset:4320
	v_mad_u64_u32 v[16:17], s[6:7], s4, v2, v[16:17]
	v_add_u32_e32 v17, s2, v17
	v_addc_co_u32_e32 v19, vcc, 0, v19, vcc
	s_waitcnt vmcnt(0) lgkmcnt(1)
	v_mul_f64 v[20:21], v[10:11], v[6:7]
	v_mul_f64 v[6:7], v[8:9], v[6:7]
	v_fmac_f64_e32 v[20:21], v[8:9], v[4:5]
	v_fma_f64 v[6:7], v[4:5], v[10:11], -v[6:7]
	v_mul_f64 v[4:5], v[20:21], s[0:1]
	v_mul_f64 v[6:7], v[6:7], s[0:1]
	global_store_dwordx4 v[16:17], v[4:7], off
	global_load_dwordx4 v[4:7], v[18:19], off offset:224
	v_mad_u64_u32 v[16:17], s[6:7], s4, v2, v[16:17]
	v_add_u32_e32 v17, s2, v17
	s_waitcnt vmcnt(0) lgkmcnt(0)
	v_mul_f64 v[8:9], v[14:15], v[6:7]
	v_mul_f64 v[6:7], v[12:13], v[6:7]
	v_fmac_f64_e32 v[8:9], v[12:13], v[4:5]
	v_fma_f64 v[6:7], v[4:5], v[14:15], -v[6:7]
	v_mul_f64 v[4:5], v[8:9], s[0:1]
	v_mul_f64 v[6:7], v[6:7], s[0:1]
	global_store_dwordx4 v[16:17], v[4:7], off
	global_load_dwordx4 v[4:7], v[18:19], off offset:704
	ds_read_b128 v[8:11], v44 offset:4800
	ds_read_b128 v[12:15], v44 offset:5280
	v_mad_u64_u32 v[16:17], s[6:7], s4, v2, v[16:17]
	v_add_u32_e32 v17, s2, v17
	s_waitcnt vmcnt(0) lgkmcnt(1)
	v_mul_f64 v[20:21], v[10:11], v[6:7]
	v_mul_f64 v[6:7], v[8:9], v[6:7]
	v_fmac_f64_e32 v[20:21], v[8:9], v[4:5]
	v_fma_f64 v[6:7], v[4:5], v[10:11], -v[6:7]
	v_mul_f64 v[4:5], v[20:21], s[0:1]
	v_mul_f64 v[6:7], v[6:7], s[0:1]
	global_store_dwordx4 v[16:17], v[4:7], off
	global_load_dwordx4 v[4:7], v[18:19], off offset:1184
	v_mad_u64_u32 v[16:17], s[6:7], s4, v2, v[16:17]
	v_add_u32_e32 v17, s2, v17
	s_waitcnt vmcnt(0) lgkmcnt(0)
	v_mul_f64 v[8:9], v[14:15], v[6:7]
	v_mul_f64 v[6:7], v[12:13], v[6:7]
	v_fmac_f64_e32 v[8:9], v[12:13], v[4:5]
	v_fma_f64 v[6:7], v[4:5], v[14:15], -v[6:7]
	v_mul_f64 v[4:5], v[8:9], s[0:1]
	v_mul_f64 v[6:7], v[6:7], s[0:1]
	global_store_dwordx4 v[16:17], v[4:7], off
	global_load_dwordx4 v[4:7], v[18:19], off offset:1664
	ds_read_b128 v[8:11], v44 offset:5760
	ds_read_b128 v[12:15], v44 offset:6240
	v_mad_u64_u32 v[16:17], s[6:7], s4, v2, v[16:17]
	v_add_u32_e32 v17, s2, v17
	;; [unrolled: 24-line block ×3, first 2 shown]
	s_waitcnt vmcnt(0) lgkmcnt(1)
	v_mul_f64 v[20:21], v[10:11], v[6:7]
	v_mul_f64 v[6:7], v[8:9], v[6:7]
	v_fmac_f64_e32 v[20:21], v[8:9], v[4:5]
	v_fma_f64 v[6:7], v[4:5], v[10:11], -v[6:7]
	v_mul_f64 v[4:5], v[20:21], s[0:1]
	v_mul_f64 v[6:7], v[6:7], s[0:1]
	global_store_dwordx4 v[16:17], v[4:7], off
	global_load_dwordx4 v[4:7], v[18:19], off offset:3104
	v_mad_u64_u32 v[8:9], s[6:7], s4, v2, v[16:17]
	v_or_b32_e32 v18, 0x1e0, v22
	v_add_u32_e32 v9, s2, v9
	v_lshlrev_b32_e32 v10, 4, v18
	s_waitcnt vmcnt(0) lgkmcnt(0)
	v_mul_f64 v[2:3], v[14:15], v[6:7]
	v_mul_f64 v[6:7], v[12:13], v[6:7]
	v_fmac_f64_e32 v[2:3], v[12:13], v[4:5]
	v_fma_f64 v[4:5], v[4:5], v[14:15], -v[6:7]
	v_mul_f64 v[2:3], v[2:3], s[0:1]
	v_mul_f64 v[4:5], v[4:5], s[0:1]
	global_store_dwordx4 v[8:9], v[2:5], off
	global_load_dwordx4 v[2:5], v10, s[8:9]
	ds_read_b128 v[6:9], v44 offset:7680
	v_mad_u64_u32 v[10:11], s[2:3], s4, v18, 0
	v_mov_b32_e32 v12, v11
	v_mad_u64_u32 v[12:13], s[2:3], s5, v18, v[12:13]
	v_mov_b32_e32 v11, v12
	v_lshl_add_u64 v[0:1], v[10:11], 4, v[0:1]
	s_waitcnt vmcnt(0) lgkmcnt(0)
	v_mul_f64 v[12:13], v[8:9], v[4:5]
	v_mul_f64 v[4:5], v[6:7], v[4:5]
	v_fmac_f64_e32 v[12:13], v[6:7], v[2:3]
	v_fma_f64 v[4:5], v[2:3], v[8:9], -v[4:5]
	v_mul_f64 v[2:3], v[12:13], s[0:1]
	v_mul_f64 v[4:5], v[4:5], s[0:1]
	global_store_dwordx4 v[0:1], v[2:5], off
.LBB0_23:
	s_endpgm
	.section	.rodata,"a",@progbits
	.p2align	6, 0x0
	.amdhsa_kernel bluestein_single_fwd_len510_dim1_dp_op_CI_CI
		.amdhsa_group_segment_fixed_size 57120
		.amdhsa_private_segment_fixed_size 0
		.amdhsa_kernarg_size 104
		.amdhsa_user_sgpr_count 2
		.amdhsa_user_sgpr_dispatch_ptr 0
		.amdhsa_user_sgpr_queue_ptr 0
		.amdhsa_user_sgpr_kernarg_segment_ptr 1
		.amdhsa_user_sgpr_dispatch_id 0
		.amdhsa_user_sgpr_kernarg_preload_length 0
		.amdhsa_user_sgpr_kernarg_preload_offset 0
		.amdhsa_user_sgpr_private_segment_size 0
		.amdhsa_uses_dynamic_stack 0
		.amdhsa_enable_private_segment 0
		.amdhsa_system_sgpr_workgroup_id_x 1
		.amdhsa_system_sgpr_workgroup_id_y 0
		.amdhsa_system_sgpr_workgroup_id_z 0
		.amdhsa_system_sgpr_workgroup_info 0
		.amdhsa_system_vgpr_workitem_id 0
		.amdhsa_next_free_vgpr 404
		.amdhsa_next_free_sgpr 62
		.amdhsa_accum_offset 256
		.amdhsa_reserve_vcc 1
		.amdhsa_float_round_mode_32 0
		.amdhsa_float_round_mode_16_64 0
		.amdhsa_float_denorm_mode_32 3
		.amdhsa_float_denorm_mode_16_64 3
		.amdhsa_dx10_clamp 1
		.amdhsa_ieee_mode 1
		.amdhsa_fp16_overflow 0
		.amdhsa_tg_split 0
		.amdhsa_exception_fp_ieee_invalid_op 0
		.amdhsa_exception_fp_denorm_src 0
		.amdhsa_exception_fp_ieee_div_zero 0
		.amdhsa_exception_fp_ieee_overflow 0
		.amdhsa_exception_fp_ieee_underflow 0
		.amdhsa_exception_fp_ieee_inexact 0
		.amdhsa_exception_int_div_zero 0
	.end_amdhsa_kernel
	.text
.Lfunc_end0:
	.size	bluestein_single_fwd_len510_dim1_dp_op_CI_CI, .Lfunc_end0-bluestein_single_fwd_len510_dim1_dp_op_CI_CI
                                        ; -- End function
	.section	.AMDGPU.csdata,"",@progbits
; Kernel info:
; codeLenInByte = 28292
; NumSgprs: 68
; NumVgprs: 256
; NumAgprs: 148
; TotalNumVgprs: 404
; ScratchSize: 0
; MemoryBound: 0
; FloatMode: 240
; IeeeMode: 1
; LDSByteSize: 57120 bytes/workgroup (compile time only)
; SGPRBlocks: 8
; VGPRBlocks: 50
; NumSGPRsForWavesPerEU: 68
; NumVGPRsForWavesPerEU: 404
; AccumOffset: 256
; Occupancy: 1
; WaveLimiterHint : 1
; COMPUTE_PGM_RSRC2:SCRATCH_EN: 0
; COMPUTE_PGM_RSRC2:USER_SGPR: 2
; COMPUTE_PGM_RSRC2:TRAP_HANDLER: 0
; COMPUTE_PGM_RSRC2:TGID_X_EN: 1
; COMPUTE_PGM_RSRC2:TGID_Y_EN: 0
; COMPUTE_PGM_RSRC2:TGID_Z_EN: 0
; COMPUTE_PGM_RSRC2:TIDIG_COMP_CNT: 0
; COMPUTE_PGM_RSRC3_GFX90A:ACCUM_OFFSET: 63
; COMPUTE_PGM_RSRC3_GFX90A:TG_SPLIT: 0
	.text
	.p2alignl 6, 3212836864
	.fill 256, 4, 3212836864
	.type	__hip_cuid_a29ba1dbf4f03017,@object ; @__hip_cuid_a29ba1dbf4f03017
	.section	.bss,"aw",@nobits
	.globl	__hip_cuid_a29ba1dbf4f03017
__hip_cuid_a29ba1dbf4f03017:
	.byte	0                               ; 0x0
	.size	__hip_cuid_a29ba1dbf4f03017, 1

	.ident	"AMD clang version 19.0.0git (https://github.com/RadeonOpenCompute/llvm-project roc-6.4.0 25133 c7fe45cf4b819c5991fe208aaa96edf142730f1d)"
	.section	".note.GNU-stack","",@progbits
	.addrsig
	.addrsig_sym __hip_cuid_a29ba1dbf4f03017
	.amdgpu_metadata
---
amdhsa.kernels:
  - .agpr_count:     148
    .args:
      - .actual_access:  read_only
        .address_space:  global
        .offset:         0
        .size:           8
        .value_kind:     global_buffer
      - .actual_access:  read_only
        .address_space:  global
        .offset:         8
        .size:           8
        .value_kind:     global_buffer
      - .actual_access:  read_only
        .address_space:  global
        .offset:         16
        .size:           8
        .value_kind:     global_buffer
      - .actual_access:  read_only
        .address_space:  global
        .offset:         24
        .size:           8
        .value_kind:     global_buffer
      - .actual_access:  read_only
        .address_space:  global
        .offset:         32
        .size:           8
        .value_kind:     global_buffer
      - .offset:         40
        .size:           8
        .value_kind:     by_value
      - .address_space:  global
        .offset:         48
        .size:           8
        .value_kind:     global_buffer
      - .address_space:  global
        .offset:         56
        .size:           8
        .value_kind:     global_buffer
      - .address_space:  global
        .offset:         64
        .size:           8
        .value_kind:     global_buffer
      - .address_space:  global
        .offset:         72
        .size:           8
        .value_kind:     global_buffer
      - .offset:         80
        .size:           4
        .value_kind:     by_value
      - .address_space:  global
        .offset:         88
        .size:           8
        .value_kind:     global_buffer
      - .address_space:  global
        .offset:         96
        .size:           8
        .value_kind:     global_buffer
    .group_segment_fixed_size: 57120
    .kernarg_segment_align: 8
    .kernarg_segment_size: 104
    .language:       OpenCL C
    .language_version:
      - 2
      - 0
    .max_flat_workgroup_size: 238
    .name:           bluestein_single_fwd_len510_dim1_dp_op_CI_CI
    .private_segment_fixed_size: 0
    .sgpr_count:     68
    .sgpr_spill_count: 0
    .symbol:         bluestein_single_fwd_len510_dim1_dp_op_CI_CI.kd
    .uniform_work_group_size: 1
    .uses_dynamic_stack: false
    .vgpr_count:     404
    .vgpr_spill_count: 0
    .wavefront_size: 64
amdhsa.target:   amdgcn-amd-amdhsa--gfx950
amdhsa.version:
  - 1
  - 2
...

	.end_amdgpu_metadata
